;; amdgpu-corpus repo=ROCm/rocSOLVER kind=compiled arch=gfx1100 opt=O3
	.text
	.amdgcn_target "amdgcn-amd-amdhsa--gfx1100"
	.amdhsa_code_object_version 6
	.section	.text._ZN9rocsolver6v33100L10reset_infoIiiiEEvPT_T0_T1_S4_,"axG",@progbits,_ZN9rocsolver6v33100L10reset_infoIiiiEEvPT_T0_T1_S4_,comdat
	.globl	_ZN9rocsolver6v33100L10reset_infoIiiiEEvPT_T0_T1_S4_ ; -- Begin function _ZN9rocsolver6v33100L10reset_infoIiiiEEvPT_T0_T1_S4_
	.p2align	8
	.type	_ZN9rocsolver6v33100L10reset_infoIiiiEEvPT_T0_T1_S4_,@function
_ZN9rocsolver6v33100L10reset_infoIiiiEEvPT_T0_T1_S4_: ; @_ZN9rocsolver6v33100L10reset_infoIiiiEEvPT_T0_T1_S4_
; %bb.0:
	s_clause 0x1
	s_load_b32 s2, s[0:1], 0x24
	s_load_b128 s[4:7], s[0:1], 0x8
	s_waitcnt lgkmcnt(0)
	s_and_b32 s2, s2, 0xffff
	s_delay_alu instid0(SALU_CYCLE_1) | instskip(SKIP_1) | instid1(VALU_DEP_1)
	v_mad_u64_u32 v[1:2], null, s15, s2, v[0:1]
	s_mov_b32 s2, exec_lo
	v_cmpx_gt_i32_e64 s4, v1
	s_cbranch_execz .LBB0_2
; %bb.1:
	s_load_b64 s[0:1], s[0:1], 0x0
	v_ashrrev_i32_e32 v2, 31, v1
	s_mov_b32 s2, s5
	s_delay_alu instid0(SALU_CYCLE_1) | instskip(NEXT) | instid1(VALU_DEP_2)
	v_mad_u64_u32 v[4:5], null, v1, s6, s[2:3]
	v_lshlrev_b64 v[2:3], 2, v[1:2]
	s_waitcnt lgkmcnt(0)
	s_delay_alu instid0(VALU_DEP_1) | instskip(NEXT) | instid1(VALU_DEP_2)
	v_add_co_u32 v0, vcc_lo, s0, v2
	v_add_co_ci_u32_e32 v1, vcc_lo, s1, v3, vcc_lo
	global_store_b32 v[0:1], v4, off
.LBB0_2:
	s_nop 0
	s_sendmsg sendmsg(MSG_DEALLOC_VGPRS)
	s_endpgm
	.section	.rodata,"a",@progbits
	.p2align	6, 0x0
	.amdhsa_kernel _ZN9rocsolver6v33100L10reset_infoIiiiEEvPT_T0_T1_S4_
		.amdhsa_group_segment_fixed_size 0
		.amdhsa_private_segment_fixed_size 0
		.amdhsa_kernarg_size 280
		.amdhsa_user_sgpr_count 15
		.amdhsa_user_sgpr_dispatch_ptr 0
		.amdhsa_user_sgpr_queue_ptr 0
		.amdhsa_user_sgpr_kernarg_segment_ptr 1
		.amdhsa_user_sgpr_dispatch_id 0
		.amdhsa_user_sgpr_private_segment_size 0
		.amdhsa_wavefront_size32 1
		.amdhsa_uses_dynamic_stack 0
		.amdhsa_enable_private_segment 0
		.amdhsa_system_sgpr_workgroup_id_x 1
		.amdhsa_system_sgpr_workgroup_id_y 0
		.amdhsa_system_sgpr_workgroup_id_z 0
		.amdhsa_system_sgpr_workgroup_info 0
		.amdhsa_system_vgpr_workitem_id 0
		.amdhsa_next_free_vgpr 6
		.amdhsa_next_free_sgpr 16
		.amdhsa_reserve_vcc 1
		.amdhsa_float_round_mode_32 0
		.amdhsa_float_round_mode_16_64 0
		.amdhsa_float_denorm_mode_32 3
		.amdhsa_float_denorm_mode_16_64 3
		.amdhsa_dx10_clamp 1
		.amdhsa_ieee_mode 1
		.amdhsa_fp16_overflow 0
		.amdhsa_workgroup_processor_mode 1
		.amdhsa_memory_ordered 1
		.amdhsa_forward_progress 0
		.amdhsa_shared_vgpr_count 0
		.amdhsa_exception_fp_ieee_invalid_op 0
		.amdhsa_exception_fp_denorm_src 0
		.amdhsa_exception_fp_ieee_div_zero 0
		.amdhsa_exception_fp_ieee_overflow 0
		.amdhsa_exception_fp_ieee_underflow 0
		.amdhsa_exception_fp_ieee_inexact 0
		.amdhsa_exception_int_div_zero 0
	.end_amdhsa_kernel
	.section	.text._ZN9rocsolver6v33100L10reset_infoIiiiEEvPT_T0_T1_S4_,"axG",@progbits,_ZN9rocsolver6v33100L10reset_infoIiiiEEvPT_T0_T1_S4_,comdat
.Lfunc_end0:
	.size	_ZN9rocsolver6v33100L10reset_infoIiiiEEvPT_T0_T1_S4_, .Lfunc_end0-_ZN9rocsolver6v33100L10reset_infoIiiiEEvPT_T0_T1_S4_
                                        ; -- End function
	.section	.AMDGPU.csdata,"",@progbits
; Kernel info:
; codeLenInByte = 136
; NumSgprs: 18
; NumVgprs: 6
; ScratchSize: 0
; MemoryBound: 0
; FloatMode: 240
; IeeeMode: 1
; LDSByteSize: 0 bytes/workgroup (compile time only)
; SGPRBlocks: 2
; VGPRBlocks: 0
; NumSGPRsForWavesPerEU: 18
; NumVGPRsForWavesPerEU: 6
; Occupancy: 16
; WaveLimiterHint : 0
; COMPUTE_PGM_RSRC2:SCRATCH_EN: 0
; COMPUTE_PGM_RSRC2:USER_SGPR: 15
; COMPUTE_PGM_RSRC2:TRAP_HANDLER: 0
; COMPUTE_PGM_RSRC2:TGID_X_EN: 1
; COMPUTE_PGM_RSRC2:TGID_Y_EN: 0
; COMPUTE_PGM_RSRC2:TGID_Z_EN: 0
; COMPUTE_PGM_RSRC2:TIDIG_COMP_CNT: 0
	.section	.text._ZN9rocsolver6v33100L16reset_batch_infoIfiiPfEEvT2_lT0_T1_,"axG",@progbits,_ZN9rocsolver6v33100L16reset_batch_infoIfiiPfEEvT2_lT0_T1_,comdat
	.globl	_ZN9rocsolver6v33100L16reset_batch_infoIfiiPfEEvT2_lT0_T1_ ; -- Begin function _ZN9rocsolver6v33100L16reset_batch_infoIfiiPfEEvT2_lT0_T1_
	.p2align	8
	.type	_ZN9rocsolver6v33100L16reset_batch_infoIfiiPfEEvT2_lT0_T1_,@function
_ZN9rocsolver6v33100L16reset_batch_infoIfiiPfEEvT2_lT0_T1_: ; @_ZN9rocsolver6v33100L16reset_batch_infoIfiiPfEEvT2_lT0_T1_
; %bb.0:
	s_clause 0x1
	s_load_b32 s4, s[0:1], 0x24
	s_load_b64 s[2:3], s[0:1], 0x10
	s_waitcnt lgkmcnt(0)
	s_and_b32 s4, s4, 0xffff
	s_delay_alu instid0(SALU_CYCLE_1) | instskip(NEXT) | instid1(VALU_DEP_1)
	v_mad_u64_u32 v[1:2], null, s14, s4, v[0:1]
	v_cmp_gt_i32_e32 vcc_lo, s2, v1
	s_and_saveexec_b32 s2, vcc_lo
	s_cbranch_execz .LBB1_2
; %bb.1:
	s_load_b128 s[4:7], s[0:1], 0x0
	v_ashrrev_i32_e32 v2, 31, v1
	s_ashr_i32 s0, s15, 31
	s_delay_alu instid0(VALU_DEP_1)
	v_lshlrev_b64 v[0:1], 2, v[1:2]
	v_cvt_f32_i32_e32 v2, s3
	s_waitcnt lgkmcnt(0)
	s_mul_i32 s1, s15, s7
	s_mul_hi_u32 s2, s15, s6
	s_mul_i32 s7, s0, s6
	s_add_i32 s1, s2, s1
	s_mul_i32 s0, s15, s6
	s_add_i32 s1, s1, s7
	s_delay_alu instid0(SALU_CYCLE_1) | instskip(NEXT) | instid1(SALU_CYCLE_1)
	s_lshl_b64 s[0:1], s[0:1], 2
	s_add_u32 s0, s4, s0
	s_addc_u32 s1, s5, s1
	v_add_co_u32 v0, vcc_lo, s0, v0
	v_add_co_ci_u32_e32 v1, vcc_lo, s1, v1, vcc_lo
	global_store_b32 v[0:1], v2, off
.LBB1_2:
	s_nop 0
	s_sendmsg sendmsg(MSG_DEALLOC_VGPRS)
	s_endpgm
	.section	.rodata,"a",@progbits
	.p2align	6, 0x0
	.amdhsa_kernel _ZN9rocsolver6v33100L16reset_batch_infoIfiiPfEEvT2_lT0_T1_
		.amdhsa_group_segment_fixed_size 0
		.amdhsa_private_segment_fixed_size 0
		.amdhsa_kernarg_size 280
		.amdhsa_user_sgpr_count 14
		.amdhsa_user_sgpr_dispatch_ptr 0
		.amdhsa_user_sgpr_queue_ptr 0
		.amdhsa_user_sgpr_kernarg_segment_ptr 1
		.amdhsa_user_sgpr_dispatch_id 0
		.amdhsa_user_sgpr_private_segment_size 0
		.amdhsa_wavefront_size32 1
		.amdhsa_uses_dynamic_stack 0
		.amdhsa_enable_private_segment 0
		.amdhsa_system_sgpr_workgroup_id_x 1
		.amdhsa_system_sgpr_workgroup_id_y 1
		.amdhsa_system_sgpr_workgroup_id_z 0
		.amdhsa_system_sgpr_workgroup_info 0
		.amdhsa_system_vgpr_workitem_id 0
		.amdhsa_next_free_vgpr 3
		.amdhsa_next_free_sgpr 16
		.amdhsa_reserve_vcc 1
		.amdhsa_float_round_mode_32 0
		.amdhsa_float_round_mode_16_64 0
		.amdhsa_float_denorm_mode_32 3
		.amdhsa_float_denorm_mode_16_64 3
		.amdhsa_dx10_clamp 1
		.amdhsa_ieee_mode 1
		.amdhsa_fp16_overflow 0
		.amdhsa_workgroup_processor_mode 1
		.amdhsa_memory_ordered 1
		.amdhsa_forward_progress 0
		.amdhsa_shared_vgpr_count 0
		.amdhsa_exception_fp_ieee_invalid_op 0
		.amdhsa_exception_fp_denorm_src 0
		.amdhsa_exception_fp_ieee_div_zero 0
		.amdhsa_exception_fp_ieee_overflow 0
		.amdhsa_exception_fp_ieee_underflow 0
		.amdhsa_exception_fp_ieee_inexact 0
		.amdhsa_exception_int_div_zero 0
	.end_amdhsa_kernel
	.section	.text._ZN9rocsolver6v33100L16reset_batch_infoIfiiPfEEvT2_lT0_T1_,"axG",@progbits,_ZN9rocsolver6v33100L16reset_batch_infoIfiiPfEEvT2_lT0_T1_,comdat
.Lfunc_end1:
	.size	_ZN9rocsolver6v33100L16reset_batch_infoIfiiPfEEvT2_lT0_T1_, .Lfunc_end1-_ZN9rocsolver6v33100L16reset_batch_infoIfiiPfEEvT2_lT0_T1_
                                        ; -- End function
	.section	.AMDGPU.csdata,"",@progbits
; Kernel info:
; codeLenInByte = 164
; NumSgprs: 18
; NumVgprs: 3
; ScratchSize: 0
; MemoryBound: 0
; FloatMode: 240
; IeeeMode: 1
; LDSByteSize: 0 bytes/workgroup (compile time only)
; SGPRBlocks: 2
; VGPRBlocks: 0
; NumSGPRsForWavesPerEU: 18
; NumVGPRsForWavesPerEU: 3
; Occupancy: 16
; WaveLimiterHint : 0
; COMPUTE_PGM_RSRC2:SCRATCH_EN: 0
; COMPUTE_PGM_RSRC2:USER_SGPR: 14
; COMPUTE_PGM_RSRC2:TRAP_HANDLER: 0
; COMPUTE_PGM_RSRC2:TGID_X_EN: 1
; COMPUTE_PGM_RSRC2:TGID_Y_EN: 1
; COMPUTE_PGM_RSRC2:TGID_Z_EN: 0
; COMPUTE_PGM_RSRC2:TIDIG_COMP_CNT: 0
	.section	.text._ZN9rocsolver6v33100L10init_identIfPfEEviiT0_iil,"axG",@progbits,_ZN9rocsolver6v33100L10init_identIfPfEEviiT0_iil,comdat
	.globl	_ZN9rocsolver6v33100L10init_identIfPfEEviiT0_iil ; -- Begin function _ZN9rocsolver6v33100L10init_identIfPfEEviiT0_iil
	.p2align	8
	.type	_ZN9rocsolver6v33100L10init_identIfPfEEviiT0_iil,@function
_ZN9rocsolver6v33100L10init_identIfPfEEviiT0_iil: ; @_ZN9rocsolver6v33100L10init_identIfPfEEviiT0_iil
; %bb.0:
	s_clause 0x1
	s_load_b32 s4, s[0:1], 0x2c
	s_load_b64 s[2:3], s[0:1], 0x0
	v_and_b32_e32 v1, 0x3ff, v0
	v_bfe_u32 v0, v0, 10, 10
	s_waitcnt lgkmcnt(0)
	s_lshr_b32 s5, s4, 16
	s_and_b32 s4, s4, 0xffff
	s_delay_alu instid0(SALU_CYCLE_1) | instskip(SKIP_1) | instid1(VALU_DEP_2)
	v_mad_u64_u32 v[2:3], null, s13, s4, v[1:2]
	v_mad_u64_u32 v[3:4], null, s14, s5, v[0:1]
	v_cmp_gt_u32_e32 vcc_lo, s2, v2
	s_delay_alu instid0(VALU_DEP_2) | instskip(NEXT) | instid1(VALU_DEP_1)
	v_cmp_gt_u32_e64 s2, s3, v3
	s_and_b32 s2, vcc_lo, s2
	s_delay_alu instid0(SALU_CYCLE_1)
	s_and_saveexec_b32 s3, s2
	s_cbranch_execz .LBB2_6
; %bb.1:
	s_load_b64 s[2:3], s[0:1], 0x10
	s_mov_b32 s4, exec_lo
                                        ; implicit-def: $sgpr5
                                        ; implicit-def: $vgpr0
	v_cmpx_ne_u32_e64 v2, v3
	s_xor_b32 s4, exec_lo, s4
	s_cbranch_execz .LBB2_3
; %bb.2:
	s_waitcnt lgkmcnt(0)
	v_mad_u64_u32 v[0:1], null, v3, s3, v[2:3]
	s_mov_b32 s5, 0
                                        ; implicit-def: $vgpr2_vgpr3
.LBB2_3:
	s_or_saveexec_b32 s4, s4
	v_mov_b32_e32 v3, s5
	s_xor_b32 exec_lo, exec_lo, s4
	s_cbranch_execz .LBB2_5
; %bb.4:
	s_waitcnt lgkmcnt(0)
	s_delay_alu instid0(VALU_DEP_1)
	v_mad_u64_u32 v[0:1], null, v2, s3, v[2:3]
	v_mov_b32_e32 v3, 1.0
.LBB2_5:
	s_or_b32 exec_lo, exec_lo, s4
	s_clause 0x1
	s_load_b64 s[4:5], s[0:1], 0x18
	s_load_b64 s[0:1], s[0:1], 0x8
	v_mov_b32_e32 v1, 0
	s_delay_alu instid0(VALU_DEP_1)
	v_lshlrev_b64 v[0:1], 2, v[0:1]
	s_waitcnt lgkmcnt(0)
	s_mul_i32 s3, s15, s5
	s_mul_hi_u32 s5, s15, s4
	s_mul_i32 s4, s15, s4
	s_add_i32 s5, s5, s3
	s_ashr_i32 s3, s2, 31
	s_lshl_b64 s[4:5], s[4:5], 2
	s_delay_alu instid0(SALU_CYCLE_1) | instskip(SKIP_2) | instid1(SALU_CYCLE_1)
	s_add_u32 s4, s0, s4
	s_addc_u32 s5, s1, s5
	s_lshl_b64 s[0:1], s[2:3], 2
	s_add_u32 s0, s4, s0
	s_addc_u32 s1, s5, s1
	v_add_co_u32 v0, vcc_lo, s0, v0
	v_add_co_ci_u32_e32 v1, vcc_lo, s1, v1, vcc_lo
	global_store_b32 v[0:1], v3, off
.LBB2_6:
	s_nop 0
	s_sendmsg sendmsg(MSG_DEALLOC_VGPRS)
	s_endpgm
	.section	.rodata,"a",@progbits
	.p2align	6, 0x0
	.amdhsa_kernel _ZN9rocsolver6v33100L10init_identIfPfEEviiT0_iil
		.amdhsa_group_segment_fixed_size 0
		.amdhsa_private_segment_fixed_size 0
		.amdhsa_kernarg_size 288
		.amdhsa_user_sgpr_count 13
		.amdhsa_user_sgpr_dispatch_ptr 0
		.amdhsa_user_sgpr_queue_ptr 0
		.amdhsa_user_sgpr_kernarg_segment_ptr 1
		.amdhsa_user_sgpr_dispatch_id 0
		.amdhsa_user_sgpr_private_segment_size 0
		.amdhsa_wavefront_size32 1
		.amdhsa_uses_dynamic_stack 0
		.amdhsa_enable_private_segment 0
		.amdhsa_system_sgpr_workgroup_id_x 1
		.amdhsa_system_sgpr_workgroup_id_y 1
		.amdhsa_system_sgpr_workgroup_id_z 1
		.amdhsa_system_sgpr_workgroup_info 0
		.amdhsa_system_vgpr_workitem_id 1
		.amdhsa_next_free_vgpr 5
		.amdhsa_next_free_sgpr 16
		.amdhsa_reserve_vcc 1
		.amdhsa_float_round_mode_32 0
		.amdhsa_float_round_mode_16_64 0
		.amdhsa_float_denorm_mode_32 3
		.amdhsa_float_denorm_mode_16_64 3
		.amdhsa_dx10_clamp 1
		.amdhsa_ieee_mode 1
		.amdhsa_fp16_overflow 0
		.amdhsa_workgroup_processor_mode 1
		.amdhsa_memory_ordered 1
		.amdhsa_forward_progress 0
		.amdhsa_shared_vgpr_count 0
		.amdhsa_exception_fp_ieee_invalid_op 0
		.amdhsa_exception_fp_denorm_src 0
		.amdhsa_exception_fp_ieee_div_zero 0
		.amdhsa_exception_fp_ieee_overflow 0
		.amdhsa_exception_fp_ieee_underflow 0
		.amdhsa_exception_fp_ieee_inexact 0
		.amdhsa_exception_int_div_zero 0
	.end_amdhsa_kernel
	.section	.text._ZN9rocsolver6v33100L10init_identIfPfEEviiT0_iil,"axG",@progbits,_ZN9rocsolver6v33100L10init_identIfPfEEviiT0_iil,comdat
.Lfunc_end2:
	.size	_ZN9rocsolver6v33100L10init_identIfPfEEviiT0_iil, .Lfunc_end2-_ZN9rocsolver6v33100L10init_identIfPfEEviiT0_iil
                                        ; -- End function
	.section	.AMDGPU.csdata,"",@progbits
; Kernel info:
; codeLenInByte = 308
; NumSgprs: 18
; NumVgprs: 5
; ScratchSize: 0
; MemoryBound: 0
; FloatMode: 240
; IeeeMode: 1
; LDSByteSize: 0 bytes/workgroup (compile time only)
; SGPRBlocks: 2
; VGPRBlocks: 0
; NumSGPRsForWavesPerEU: 18
; NumVGPRsForWavesPerEU: 5
; Occupancy: 16
; WaveLimiterHint : 0
; COMPUTE_PGM_RSRC2:SCRATCH_EN: 0
; COMPUTE_PGM_RSRC2:USER_SGPR: 13
; COMPUTE_PGM_RSRC2:TRAP_HANDLER: 0
; COMPUTE_PGM_RSRC2:TGID_X_EN: 1
; COMPUTE_PGM_RSRC2:TGID_Y_EN: 1
; COMPUTE_PGM_RSRC2:TGID_Z_EN: 1
; COMPUTE_PGM_RSRC2:TIDIG_COMP_CNT: 1
	.section	.text._ZN9rocsolver6v33100L12sterf_kernelIfEEviPT_lS3_lPiS4_iS2_S2_S2_,"axG",@progbits,_ZN9rocsolver6v33100L12sterf_kernelIfEEviPT_lS3_lPiS4_iS2_S2_S2_,comdat
	.globl	_ZN9rocsolver6v33100L12sterf_kernelIfEEviPT_lS3_lPiS4_iS2_S2_S2_ ; -- Begin function _ZN9rocsolver6v33100L12sterf_kernelIfEEviPT_lS3_lPiS4_iS2_S2_S2_
	.p2align	8
	.type	_ZN9rocsolver6v33100L12sterf_kernelIfEEviPT_lS3_lPiS4_iS2_S2_S2_,@function
_ZN9rocsolver6v33100L12sterf_kernelIfEEviPT_lS3_lPiS4_iS2_S2_S2_: ; @_ZN9rocsolver6v33100L12sterf_kernelIfEEviPT_lS3_lPiS4_iS2_S2_S2_
; %bb.0:
	s_mov_b32 s20, s15
	s_clause 0x2
	s_load_b256 s[8:15], s[0:1], 0x8
	s_load_b32 s33, s[0:1], 0x0
	s_load_b128 s[16:19], s[0:1], 0x38
	s_ashr_i32 s21, s20, 31
	s_waitcnt lgkmcnt(0)
	s_mul_i32 s3, s20, s11
	s_mul_hi_u32 s4, s20, s10
	s_mul_i32 s5, s21, s10
	s_add_i32 s3, s4, s3
	s_mul_i32 s2, s20, s10
	s_add_i32 s3, s3, s5
	s_mul_i32 s4, s20, s15
	s_lshl_b64 s[6:7], s[2:3], 2
	s_mul_hi_u32 s5, s20, s14
	s_add_u32 s46, s8, s6
	s_mul_i32 s3, s21, s14
	s_addc_u32 s47, s9, s7
	s_add_i32 s4, s5, s4
	s_mul_i32 s2, s20, s14
	s_add_i32 s3, s4, s3
	s_delay_alu instid0(SALU_CYCLE_1) | instskip(NEXT) | instid1(SALU_CYCLE_1)
	s_lshl_b64 s[2:3], s[2:3], 2
	s_add_u32 s10, s12, s2
	s_addc_u32 s11, s13, s3
	s_min_i32 s4, s33, s16
	s_delay_alu instid0(SALU_CYCLE_1)
	s_cmp_lt_i32 s4, 1
	s_cbranch_scc1 .LBB3_152
; %bb.1:
	s_add_i32 s48, s33, -1
	s_add_u32 s49, s10, -4
	s_addc_u32 s50, s11, -1
	s_add_u32 s51, s46, -4
	s_addc_u32 s52, s47, -1
	s_add_u32 s53, s12, s2
	s_addc_u32 s54, s13, s3
	s_add_u32 s55, s53, -4
	s_addc_u32 s56, s54, -1
	s_add_u32 s57, s8, s6
	s_addc_u32 s58, s9, s7
	v_mul_f32_e64 v0, s17, s17
	s_add_u32 s59, s57, 4
	v_mov_b32_e32 v1, 0
	s_addc_u32 s60, s58, 0
	s_add_u32 s61, s53, 4
	s_mov_b32 s12, 0x667f3bcd
	s_addc_u32 s62, s54, 0
	s_mov_b32 s13, 0x3ff6a09e
	s_mov_b32 s15, 0
	;; [unrolled: 1-line block ×4, first 2 shown]
	s_branch .LBB3_4
.LBB3_2:                                ;   in Loop: Header=BB3_4 Depth=1
	s_cmp_ge_i32 s35, s16
	s_cselect_b32 s2, -1, 0
	s_cmp_ge_i32 s63, s33
	s_cselect_b32 s3, -1, 0
	s_delay_alu instid0(SALU_CYCLE_1)
	s_or_b32 s2, s3, s2
.LBB3_3:                                ;   in Loop: Header=BB3_4 Depth=1
	s_delay_alu instid0(SALU_CYCLE_1)
	s_and_b32 vcc_lo, exec_lo, s2
	s_mov_b32 s64, s35
	s_cbranch_vccnz .LBB3_152
.LBB3_4:                                ; =>This Loop Header: Depth=1
                                        ;     Child Loop BB3_6 Depth 2
                                        ;       Child Loop BB3_12 Depth 3
                                        ;       Child Loop BB3_19 Depth 3
                                        ;     Child Loop BB3_36 Depth 2
                                        ;     Child Loop BB3_30 Depth 2
	;; [unrolled: 1-line block ×4, first 2 shown]
                                        ;       Child Loop BB3_51 Depth 3
                                        ;       Child Loop BB3_63 Depth 3
                                        ;     Child Loop BB3_97 Depth 2
                                        ;       Child Loop BB3_99 Depth 3
                                        ;       Child Loop BB3_112 Depth 3
                                        ;     Child Loop BB3_147 Depth 2
                                        ;     Child Loop BB3_151 Depth 2
	s_mov_b32 s26, s63
	s_branch .LBB3_6
.LBB3_5:                                ;   in Loop: Header=BB3_6 Depth=2
	s_and_not1_b32 vcc_lo, exec_lo, s27
	s_mov_b32 s26, s63
	s_cbranch_vccz .LBB3_25
.LBB3_6:                                ;   Parent Loop BB3_4 Depth=1
                                        ; =>  This Loop Header: Depth=2
                                        ;       Child Loop BB3_12 Depth 3
                                        ;       Child Loop BB3_19 Depth 3
	s_cmp_gt_i32 s26, 0
	s_mov_b32 s27, -1
                                        ; implicit-def: $sgpr4_sgpr5
	s_cbranch_scc1 .LBB3_8
; %bb.7:                                ;   in Loop: Header=BB3_6 Depth=2
	s_mov_b32 s27, 0
	s_delay_alu instid0(SALU_CYCLE_1)
	s_mov_b64 s[4:5], s[26:27]
.LBB3_8:                                ;   in Loop: Header=BB3_6 Depth=2
	s_and_not1_b32 vcc_lo, exec_lo, s27
	s_cbranch_vccnz .LBB3_10
; %bb.9:                                ;   in Loop: Header=BB3_6 Depth=2
	s_mov_b32 s27, s15
	s_delay_alu instid0(SALU_CYCLE_1)
	s_lshl_b64 s[2:3], s[26:27], 2
	s_mov_b64 s[4:5], s[26:27]
	s_add_u32 s2, s49, s2
	s_addc_u32 s3, s50, s3
	global_store_b32 v1, v1, s[2:3]
.LBB3_10:                               ;   in Loop: Header=BB3_6 Depth=2
	s_lshl_b64 s[22:23], s[4:5], 2
	s_mov_b32 s63, s26
	s_add_u32 s28, s55, s22
	s_addc_u32 s29, s56, s23
	s_add_u32 s24, s59, s22
	s_addc_u32 s25, s60, s23
	s_branch .LBB3_12
.LBB3_11:                               ;   in Loop: Header=BB3_12 Depth=3
	s_delay_alu instid0(VALU_DEP_1)
	s_and_not1_b32 vcc_lo, exec_lo, s30
	s_cbranch_vccz .LBB3_14
.LBB3_12:                               ;   Parent Loop BB3_4 Depth=1
                                        ;     Parent Loop BB3_6 Depth=2
                                        ; =>    This Inner Loop Header: Depth=3
	s_mov_b32 s14, s63
	s_mov_b32 s27, -1
	s_cmp_ge_i32 s63, s48
	s_mov_b32 s30, -1
                                        ; implicit-def: $sgpr63
                                        ; implicit-def: $sgpr2_sgpr3
	s_cbranch_scc1 .LBB3_11
; %bb.13:                               ;   in Loop: Header=BB3_12 Depth=3
	s_clause 0x1
	global_load_b64 v[2:3], v1, s[24:25] offset:-4
	global_load_b32 v4, v1, s[28:29] offset:4
	s_mov_b32 s27, 0
	s_waitcnt vmcnt(1)
	v_mul_f32_e64 v5, 0x4f800000, |v2|
	v_cmp_gt_f32_e64 vcc_lo, 0xf800000, |v2|
	v_mul_f32_e64 v6, 0x4f800000, |v3|
	v_cmp_gt_f32_e64 s2, 0xf800000, |v3|
	s_delay_alu instid0(VALU_DEP_3) | instskip(NEXT) | instid1(VALU_DEP_2)
	v_cndmask_b32_e64 v2, |v2|, v5, vcc_lo
	v_cndmask_b32_e64 v3, |v3|, v6, s2
	s_delay_alu instid0(VALU_DEP_2) | instskip(NEXT) | instid1(VALU_DEP_1)
	v_sqrt_f32_e32 v5, v2
	v_sqrt_f32_e32 v6, v3
	s_waitcnt_depctr 0xfff
	v_add_nc_u32_e32 v7, -1, v5
	v_add_nc_u32_e32 v9, 1, v5
	v_add_nc_u32_e32 v8, -1, v6
	v_add_nc_u32_e32 v10, 1, v6
	s_delay_alu instid0(VALU_DEP_4) | instskip(NEXT) | instid1(VALU_DEP_4)
	v_fma_f32 v11, -v7, v5, v2
	v_fma_f32 v13, -v9, v5, v2
	s_delay_alu instid0(VALU_DEP_4) | instskip(NEXT) | instid1(VALU_DEP_4)
	v_fma_f32 v12, -v8, v6, v3
	v_fma_f32 v14, -v10, v6, v3
	s_delay_alu instid0(VALU_DEP_4) | instskip(NEXT) | instid1(VALU_DEP_1)
	v_cmp_ge_f32_e64 s3, 0, v11
	v_cndmask_b32_e64 v5, v5, v7, s3
	s_delay_alu instid0(VALU_DEP_4) | instskip(NEXT) | instid1(VALU_DEP_1)
	v_cmp_ge_f32_e64 s3, 0, v12
	v_cndmask_b32_e64 v6, v6, v8, s3
	v_cmp_lt_f32_e64 s3, 0, v13
	s_delay_alu instid0(VALU_DEP_1) | instskip(SKIP_1) | instid1(VALU_DEP_2)
	v_cndmask_b32_e64 v5, v5, v9, s3
	v_cmp_lt_f32_e64 s3, 0, v14
	v_mul_f32_e32 v7, 0x37800000, v5
	s_delay_alu instid0(VALU_DEP_1) | instskip(NEXT) | instid1(VALU_DEP_3)
	v_cndmask_b32_e32 v5, v5, v7, vcc_lo
	v_cndmask_b32_e64 v6, v6, v10, s3
	v_cmp_class_f32_e64 vcc_lo, v2, 0x260
	s_delay_alu instid0(VALU_DEP_2) | instskip(NEXT) | instid1(VALU_DEP_4)
	v_mul_f32_e32 v8, 0x37800000, v6
	v_cndmask_b32_e32 v2, v5, v2, vcc_lo
	v_cmp_class_f32_e64 vcc_lo, v3, 0x260
	s_delay_alu instid0(VALU_DEP_3)
	v_cndmask_b32_e64 v6, v6, v8, s2
	s_add_u32 s2, s28, 4
	s_addc_u32 s3, s29, 0
	s_add_i32 s63, s14, 1
	s_add_u32 s24, s24, 4
	v_cndmask_b32_e32 v3, v6, v3, vcc_lo
	s_addc_u32 s25, s25, 0
	s_mov_b64 s[28:29], s[2:3]
	s_delay_alu instid0(VALU_DEP_1) | instskip(NEXT) | instid1(VALU_DEP_1)
	v_mul_f32_e32 v2, v2, v3
	v_mul_f32_e32 v2, s17, v2
	s_waitcnt vmcnt(0)
	s_delay_alu instid0(VALU_DEP_1)
	v_cmp_le_f32_e64 s30, |v4|, v2
	s_branch .LBB3_11
.LBB3_14:                               ;   in Loop: Header=BB3_6 Depth=2
	s_and_not1_b32 vcc_lo, exec_lo, s27
	s_mov_b32 s24, -1
	s_cbranch_vccnz .LBB3_21
; %bb.15:                               ;   in Loop: Header=BB3_6 Depth=2
	s_and_not1_b32 vcc_lo, exec_lo, s24
	s_cbranch_vccz .LBB3_22
.LBB3_16:                               ;   in Loop: Header=BB3_6 Depth=2
	s_cmp_lg_u32 s14, s26
	s_mov_b32 s27, -1
	s_cbranch_scc0 .LBB3_23
.LBB3_17:                               ;   in Loop: Header=BB3_6 Depth=2
	s_lshl_b64 s[2:3], s[14:15], 2
	s_delay_alu instid0(SALU_CYCLE_1)
	s_add_u32 s24, s46, s2
	s_addc_u32 s25, s47, s3
	s_cmp_lt_i32 s26, s14
	global_load_b32 v3, v1, s[24:25]
	s_cselect_b32 s30, -1, 0
	s_cmp_ge_i32 s26, s14
	s_waitcnt vmcnt(0)
	v_and_b32_e32 v2, 0x7fffffff, v3
	s_cbranch_scc1 .LBB3_20
; %bb.18:                               ;   in Loop: Header=BB3_6 Depth=2
	s_add_u32 s2, s57, s22
	s_addc_u32 s3, s58, s23
	s_add_u32 s28, s53, s22
	s_addc_u32 s29, s54, s23
	s_mov_b32 s31, s26
.LBB3_19:                               ;   Parent Loop BB3_4 Depth=1
                                        ;     Parent Loop BB3_6 Depth=2
                                        ; =>    This Inner Loop Header: Depth=3
	s_clause 0x1
	global_load_b32 v4, v1, s[2:3]
	global_load_b32 v5, v1, s[28:29]
	s_add_i32 s31, s31, 1
	s_add_u32 s2, s2, 4
	s_addc_u32 s3, s3, 0
	s_add_u32 s28, s28, 4
	s_addc_u32 s29, s29, 0
	s_cmp_lt_i32 s31, s14
	s_waitcnt vmcnt(0)
	v_max3_f32 v2, v2, |v4|, |v5|
	s_cbranch_scc1 .LBB3_19
.LBB3_20:                               ;   in Loop: Header=BB3_6 Depth=2
	s_delay_alu instid0(VALU_DEP_1) | instskip(SKIP_1) | instid1(VALU_DEP_1)
	v_cmp_eq_f32_e64 s3, 0, v2
	s_mov_b32 s2, -1
	s_and_b32 vcc_lo, exec_lo, s3
	s_mov_b32 s65, s26
	s_cbranch_vccz .LBB3_5
	s_branch .LBB3_24
.LBB3_21:                               ;   in Loop: Header=BB3_6 Depth=2
	global_store_b32 v1, v1, s[2:3]
	s_cbranch_execnz .LBB3_16
.LBB3_22:                               ;   in Loop: Header=BB3_6 Depth=2
	s_max_i32 s14, s26, s48
	s_delay_alu instid0(SALU_CYCLE_1)
	s_add_i32 s63, s14, 1
	s_cmp_lg_u32 s14, s26
	s_mov_b32 s27, -1
	s_cbranch_scc1 .LBB3_17
.LBB3_23:                               ;   in Loop: Header=BB3_6 Depth=2
                                        ; implicit-def: $sgpr2
                                        ; implicit-def: $sgpr24_sgpr25
                                        ; implicit-def: $vgpr3
                                        ; implicit-def: $sgpr30
                                        ; implicit-def: $vgpr2
	s_mov_b32 s65, s26
	s_cbranch_execz .LBB3_5
.LBB3_24:                               ;   in Loop: Header=BB3_6 Depth=2
	s_cmp_ge_i32 s63, s33
	s_mov_b32 s2, 0
	s_cselect_b32 s27, -1, 0
	s_mov_b32 s65, s26
	s_branch .LBB3_5
.LBB3_25:                               ;   in Loop: Header=BB3_4 Depth=1
	s_and_b32 vcc_lo, exec_lo, s2
	s_mov_b32 s2, -1
                                        ; implicit-def: $sgpr35
	s_cbranch_vccz .LBB3_3
; %bb.26:                               ;   in Loop: Header=BB3_4 Depth=1
	v_cmp_nlt_f32_e32 vcc_lo, s19, v2
	s_cbranch_vccz .LBB3_32
; %bb.27:                               ;   in Loop: Header=BB3_4 Depth=1
	v_cmp_gt_f32_e32 vcc_lo, s18, v2
	s_cbranch_vccz .LBB3_33
; %bb.28:                               ;   in Loop: Header=BB3_4 Depth=1
	v_div_scale_f32 v4, null, s18, s18, v2
	v_div_scale_f32 v7, vcc_lo, v2, s18, v2
	s_mov_b32 s2, 0
	s_delay_alu instid0(VALU_DEP_2) | instskip(SKIP_2) | instid1(VALU_DEP_1)
	v_rcp_f32_e32 v5, v4
	s_waitcnt_depctr 0xfff
	v_fma_f32 v6, -v4, v5, 1.0
	v_fmac_f32_e32 v5, v6, v5
	s_delay_alu instid0(VALU_DEP_1) | instskip(NEXT) | instid1(VALU_DEP_1)
	v_mul_f32_e32 v6, v7, v5
	v_fma_f32 v8, -v4, v6, v7
	s_delay_alu instid0(VALU_DEP_1) | instskip(NEXT) | instid1(VALU_DEP_1)
	v_fmac_f32_e32 v6, v8, v5
	v_fma_f32 v4, -v4, v6, v7
	s_delay_alu instid0(VALU_DEP_1) | instskip(SKIP_1) | instid1(VALU_DEP_1)
	v_div_fmas_f32 v4, v4, v5, v6
	s_and_b32 vcc_lo, exec_lo, s30
	v_div_fixup_f32 v4, v4, s18, v2
	s_waitcnt vmcnt(0)
	s_delay_alu instid0(VALU_DEP_1)
	v_mul_f32_e32 v5, v3, v4
	global_store_b32 v1, v5, s[24:25]
	s_cbranch_vccz .LBB3_33
; %bb.29:                               ;   in Loop: Header=BB3_4 Depth=1
	s_add_u32 s2, s57, s22
	s_addc_u32 s3, s58, s23
	s_add_u32 s26, s53, s22
	s_addc_u32 s27, s54, s23
	s_mov_b32 s28, s65
	.p2align	6
.LBB3_30:                               ;   Parent Loop BB3_4 Depth=1
                                        ; =>  This Inner Loop Header: Depth=2
	global_load_b32 v5, v1, s[2:3]
	s_add_i32 s28, s28, 1
	s_waitcnt vmcnt(0)
	v_mul_f32_e32 v5, v4, v5
	global_store_b32 v1, v5, s[2:3]
	global_load_b32 v5, v1, s[26:27]
	s_add_u32 s2, s2, 4
	s_addc_u32 s3, s3, 0
	s_waitcnt vmcnt(0)
	v_mul_f32_e32 v5, v4, v5
	global_store_b32 v1, v5, s[26:27]
	s_add_u32 s26, s26, 4
	s_addc_u32 s27, s27, 0
	s_cmp_lt_i32 s28, s14
	s_cbranch_scc1 .LBB3_30
; %bb.31:                               ;   in Loop: Header=BB3_4 Depth=1
	s_mov_b32 s2, -1
	s_branch .LBB3_38
.LBB3_32:                               ;   in Loop: Header=BB3_4 Depth=1
	s_mov_b32 s2, 0
	s_cbranch_execnz .LBB3_34
	s_branch .LBB3_38
.LBB3_33:                               ;   in Loop: Header=BB3_4 Depth=1
	s_branch .LBB3_38
.LBB3_34:                               ;   in Loop: Header=BB3_4 Depth=1
	v_div_scale_f32 v4, null, s19, s19, v2
	v_div_scale_f32 v7, vcc_lo, v2, s19, v2
	s_delay_alu instid0(VALU_DEP_2) | instskip(SKIP_2) | instid1(VALU_DEP_1)
	v_rcp_f32_e32 v5, v4
	s_waitcnt_depctr 0xfff
	v_fma_f32 v6, -v4, v5, 1.0
	v_fmac_f32_e32 v5, v6, v5
	s_delay_alu instid0(VALU_DEP_1) | instskip(NEXT) | instid1(VALU_DEP_1)
	v_mul_f32_e32 v6, v7, v5
	v_fma_f32 v8, -v4, v6, v7
	s_delay_alu instid0(VALU_DEP_1) | instskip(NEXT) | instid1(VALU_DEP_1)
	v_fmac_f32_e32 v6, v8, v5
	v_fma_f32 v4, -v4, v6, v7
	s_delay_alu instid0(VALU_DEP_1) | instskip(SKIP_1) | instid1(VALU_DEP_1)
	v_div_fmas_f32 v4, v4, v5, v6
	s_and_b32 vcc_lo, exec_lo, s30
	v_div_fixup_f32 v4, v4, s19, v2
	s_waitcnt vmcnt(0)
	s_delay_alu instid0(VALU_DEP_1)
	v_mul_f32_e32 v3, v3, v4
	global_store_b32 v1, v3, s[24:25]
	s_cbranch_vccz .LBB3_38
; %bb.35:                               ;   in Loop: Header=BB3_4 Depth=1
	s_add_u32 s2, s57, s22
	s_addc_u32 s3, s58, s23
	s_add_u32 s26, s53, s22
	s_addc_u32 s27, s54, s23
	s_mov_b32 s28, s65
	.p2align	6
.LBB3_36:                               ;   Parent Loop BB3_4 Depth=1
                                        ; =>  This Inner Loop Header: Depth=2
	global_load_b32 v3, v1, s[2:3]
	s_add_i32 s28, s28, 1
	s_waitcnt vmcnt(0)
	v_mul_f32_e32 v3, v4, v3
	global_store_b32 v1, v3, s[2:3]
	global_load_b32 v3, v1, s[26:27]
	s_add_u32 s2, s2, 4
	s_addc_u32 s3, s3, 0
	s_waitcnt vmcnt(0)
	v_mul_f32_e32 v3, v4, v3
	global_store_b32 v1, v3, s[26:27]
	s_add_u32 s26, s26, 4
	s_addc_u32 s27, s27, 0
	s_cmp_ge_i32 s28, s14
	s_cbranch_scc0 .LBB3_36
; %bb.37:                               ;   in Loop: Header=BB3_4 Depth=1
	s_mov_b32 s2, -1
.LBB3_38:                               ;   in Loop: Header=BB3_4 Depth=1
	s_waitcnt vmcnt(0)
	v_cndmask_b32_e64 v3, 0, 1, s30
	s_and_b32 vcc_lo, exec_lo, s2
	s_delay_alu instid0(VALU_DEP_1)
	v_cmp_ne_u32_e64 s2, 1, v3
	s_cbranch_vccz .LBB3_42
; %bb.39:                               ;   in Loop: Header=BB3_4 Depth=1
	s_delay_alu instid0(VALU_DEP_1)
	s_and_b32 vcc_lo, exec_lo, s2
	s_cbranch_vccnz .LBB3_42
; %bb.40:                               ;   in Loop: Header=BB3_4 Depth=1
	s_add_u32 s26, s53, s22
	s_addc_u32 s27, s54, s23
	s_mov_b32 s3, s65
.LBB3_41:                               ;   Parent Loop BB3_4 Depth=1
                                        ; =>  This Inner Loop Header: Depth=2
	global_load_b32 v3, v1, s[26:27]
	s_add_i32 s3, s3, 1
	s_waitcnt vmcnt(0)
	v_mul_f32_e32 v3, v3, v3
	global_store_b32 v1, v3, s[26:27]
	s_add_u32 s26, s26, 4
	s_addc_u32 s27, s27, 0
	s_cmp_lt_i32 s3, s14
	s_cbranch_scc1 .LBB3_41
.LBB3_42:                               ;   in Loop: Header=BB3_4 Depth=1
	s_lshl_b64 s[4:5], s[4:5], 2
                                        ; implicit-def: $sgpr35
	s_delay_alu instid0(SALU_CYCLE_1)
	s_add_u32 s4, s46, s4
	s_addc_u32 s5, s47, s5
	s_clause 0x1
	global_load_b32 v3, v1, s[24:25]
	global_load_b32 v4, v1, s[4:5]
	s_mov_b32 s4, -1
	s_waitcnt vmcnt(0)
	v_cmp_lt_f32_e64 s3, |v3|, |v4|
	s_delay_alu instid0(VALU_DEP_1)
	s_and_b32 s3, s3, exec_lo
	s_cselect_b32 s66, s65, s14
	s_cselect_b32 s26, s14, s65
	s_cmp_lt_i32 s64, s16
	s_cselect_b32 s3, -1, 0
	s_cmp_lt_i32 s66, s26
	v_cndmask_b32_e64 v3, 0, 1, s3
	s_delay_alu instid0(VALU_DEP_1)
	v_cmp_ne_u32_e64 s3, 1, v3
	s_cbranch_scc0 .LBB3_45
; %bb.43:                               ;   in Loop: Header=BB3_4 Depth=1
	s_and_not1_b32 vcc_lo, exec_lo, s4
	s_cbranch_vccz .LBB3_47
.LBB3_44:                               ;   in Loop: Header=BB3_4 Depth=1
	v_cmp_lt_f32_e32 vcc_lo, s19, v2
	s_and_not1_b32 vcc_lo, exec_lo, vcc_lo
	s_cbranch_vccz .LBB3_145
	s_branch .LBB3_148
.LBB3_45:                               ;   in Loop: Header=BB3_4 Depth=1
	s_delay_alu instid0(VALU_DEP_1)
	s_and_b32 vcc_lo, exec_lo, s3
	s_mov_b32 s35, s64
	s_mov_b32 s28, s26
	s_mov_b32 s27, s64
	s_cbranch_vccz .LBB3_49
.LBB3_46:                               ;   in Loop: Header=BB3_4 Depth=1
	s_cbranch_execnz .LBB3_44
.LBB3_47:                               ;   in Loop: Header=BB3_4 Depth=1
	s_delay_alu instid0(VALU_DEP_1)
	s_and_b32 vcc_lo, exec_lo, s3
	s_cbranch_vccz .LBB3_97
	s_branch .LBB3_144
.LBB3_48:                               ;   in Loop: Header=BB3_49 Depth=2
	s_and_not1_b32 vcc_lo, exec_lo, s29
	s_mov_b32 s28, s4
	s_cbranch_vccz .LBB3_46
.LBB3_49:                               ;   Parent Loop BB3_4 Depth=1
                                        ; =>  This Loop Header: Depth=2
                                        ;       Child Loop BB3_51 Depth 3
                                        ;       Child Loop BB3_63 Depth 3
	s_mov_b32 s29, s15
	s_max_i32 s34, s66, s28
	s_lshl_b64 s[36:37], s[28:29], 2
	s_mov_b32 s40, s28
	s_add_u32 s30, s55, s36
	s_addc_u32 s31, s56, s37
	s_add_u32 s4, s59, s36
	s_addc_u32 s5, s60, s37
	s_branch .LBB3_51
	.p2align	6
.LBB3_50:                               ;   in Loop: Header=BB3_51 Depth=3
	s_delay_alu instid0(VALU_DEP_1)
	s_and_not1_b32 vcc_lo, exec_lo, s41
	s_cbranch_vccz .LBB3_53
.LBB3_51:                               ;   Parent Loop BB3_4 Depth=1
                                        ;     Parent Loop BB3_49 Depth=2
                                        ; =>    This Inner Loop Header: Depth=3
	s_mov_b32 s29, s40
	s_mov_b32 s35, -1
	s_cmp_ge_i32 s40, s66
	s_mov_b32 s41, -1
                                        ; implicit-def: $sgpr40
                                        ; implicit-def: $sgpr38_sgpr39
	s_cbranch_scc1 .LBB3_50
; %bb.52:                               ;   in Loop: Header=BB3_51 Depth=3
	s_clause 0x1
	global_load_b64 v[3:4], v1, s[4:5] offset:-4
	global_load_b32 v5, v1, s[30:31] offset:4
	s_add_u32 s38, s30, 4
	s_addc_u32 s39, s31, 0
	s_add_i32 s40, s29, 1
	s_add_u32 s4, s4, 4
	s_addc_u32 s5, s5, 0
	s_mov_b32 s35, 0
	s_mov_b64 s[30:31], s[38:39]
	s_waitcnt vmcnt(1)
	v_mul_f32_e32 v3, v3, v4
	s_delay_alu instid0(VALU_DEP_1) | instskip(SKIP_1) | instid1(VALU_DEP_1)
	v_mul_f32_e64 v3, v0, |v3|
	s_waitcnt vmcnt(0)
	v_cmp_le_f32_e64 s41, |v5|, v3
	s_branch .LBB3_50
.LBB3_53:                               ;   in Loop: Header=BB3_49 Depth=2
	s_and_not1_b32 vcc_lo, exec_lo, s35
	s_cbranch_vccz .LBB3_55
; %bb.54:                               ;   in Loop: Header=BB3_49 Depth=2
	s_mov_b32 s34, s29
	global_store_b32 v1, v1, s[38:39]
.LBB3_55:                               ;   in Loop: Header=BB3_49 Depth=2
	s_add_i32 s4, s28, 1
	s_cmp_eq_u32 s34, s28
	s_mov_b32 s29, -1
	s_cbranch_scc1 .LBB3_71
; %bb.56:                               ;   in Loop: Header=BB3_49 Depth=2
	s_add_u32 s30, s46, s36
	s_addc_u32 s31, s47, s37
	s_cmp_lg_u32 s34, s4
	global_load_b32 v3, v1, s[30:31]
	s_cbranch_scc0 .LBB3_72
; %bb.57:                               ;   in Loop: Header=BB3_49 Depth=2
	s_mov_b32 s67, 0
	s_cmp_lg_u32 s27, s16
	s_mov_b32 s5, 0
                                        ; implicit-def: $sgpr40
	s_cbranch_scc0 .LBB3_76
; %bb.58:                               ;   in Loop: Header=BB3_49 Depth=2
	s_add_u32 s38, s10, s36
	s_addc_u32 s39, s11, s37
	s_mov_b32 s35, s15
	global_load_b32 v4, v1, s[38:39]
	s_lshl_b64 s[4:5], s[34:35], 2
	s_delay_alu instid0(SALU_CYCLE_1)
	s_add_u32 s4, s46, s4
	s_addc_u32 s5, s47, s5
	s_clause 0x1
	global_load_b32 v5, v1, s[4:5]
	global_load_b32 v6, v1, s[30:31] offset:4
	s_cmp_le_i32 s34, s28
	s_waitcnt vmcnt(2)
	v_mul_f32_e32 v7, 0x4f800000, v4
	v_cmp_gt_f32_e32 vcc_lo, 0xf800000, v4
	s_waitcnt vmcnt(0)
	v_sub_f32_e32 v6, v6, v3
	s_delay_alu instid0(VALU_DEP_3) | instskip(NEXT) | instid1(VALU_DEP_1)
	v_cndmask_b32_e32 v4, v4, v7, vcc_lo
	v_sqrt_f32_e32 v7, v4
	s_waitcnt_depctr 0xfff
	v_add_nc_u32_e32 v8, -1, v7
	v_add_nc_u32_e32 v9, 1, v7
	s_delay_alu instid0(VALU_DEP_2) | instskip(NEXT) | instid1(VALU_DEP_2)
	v_fma_f32 v10, -v8, v7, v4
	v_fma_f32 v11, -v9, v7, v4
	s_delay_alu instid0(VALU_DEP_2) | instskip(NEXT) | instid1(VALU_DEP_1)
	v_cmp_ge_f32_e64 s4, 0, v10
	v_cndmask_b32_e64 v7, v7, v8, s4
	s_delay_alu instid0(VALU_DEP_3) | instskip(NEXT) | instid1(VALU_DEP_1)
	v_cmp_lt_f32_e64 s4, 0, v11
	v_cndmask_b32_e64 v7, v7, v9, s4
	s_delay_alu instid0(VALU_DEP_1) | instskip(NEXT) | instid1(VALU_DEP_1)
	v_mul_f32_e32 v8, 0x37800000, v7
	v_cndmask_b32_e32 v7, v7, v8, vcc_lo
	v_cmp_class_f32_e64 vcc_lo, v4, 0x260
	s_delay_alu instid0(VALU_DEP_2) | instskip(NEXT) | instid1(VALU_DEP_1)
	v_cndmask_b32_e32 v4, v7, v4, vcc_lo
	v_add_f32_e32 v7, v4, v4
	s_delay_alu instid0(VALU_DEP_1) | instskip(SKIP_1) | instid1(VALU_DEP_2)
	v_div_scale_f32 v8, null, v7, v7, v6
	v_div_scale_f32 v11, vcc_lo, v6, v7, v6
	v_rcp_f32_e32 v9, v8
	s_waitcnt_depctr 0xfff
	v_fma_f32 v10, -v8, v9, 1.0
	s_delay_alu instid0(VALU_DEP_1) | instskip(NEXT) | instid1(VALU_DEP_1)
	v_fmac_f32_e32 v9, v10, v9
	v_mul_f32_e32 v10, v11, v9
	s_delay_alu instid0(VALU_DEP_1) | instskip(NEXT) | instid1(VALU_DEP_1)
	v_fma_f32 v12, -v8, v10, v11
	v_fmac_f32_e32 v10, v12, v9
	s_delay_alu instid0(VALU_DEP_1) | instskip(NEXT) | instid1(VALU_DEP_1)
	v_fma_f32 v8, -v8, v10, v11
	v_div_fmas_f32 v8, v8, v9, v10
	s_delay_alu instid0(VALU_DEP_1) | instskip(NEXT) | instid1(VALU_DEP_1)
	v_div_fixup_f32 v6, v8, v7, v6
	v_fma_f32 v7, v6, v6, 1.0
	s_delay_alu instid0(VALU_DEP_1) | instskip(SKIP_1) | instid1(VALU_DEP_2)
	v_mul_f32_e32 v8, 0x4f800000, v7
	v_cmp_gt_f32_e32 vcc_lo, 0xf800000, v7
	v_cndmask_b32_e32 v7, v7, v8, vcc_lo
	s_delay_alu instid0(VALU_DEP_1) | instskip(SKIP_3) | instid1(VALU_DEP_2)
	v_sqrt_f32_e32 v8, v7
	s_waitcnt_depctr 0xfff
	v_add_nc_u32_e32 v9, -1, v8
	v_add_nc_u32_e32 v10, 1, v8
	v_fma_f32 v11, -v9, v8, v7
	s_delay_alu instid0(VALU_DEP_2) | instskip(NEXT) | instid1(VALU_DEP_2)
	v_fma_f32 v12, -v10, v8, v7
	v_cmp_ge_f32_e64 s4, 0, v11
	s_delay_alu instid0(VALU_DEP_1) | instskip(NEXT) | instid1(VALU_DEP_3)
	v_cndmask_b32_e64 v8, v8, v9, s4
	v_cmp_lt_f32_e64 s4, 0, v12
	s_delay_alu instid0(VALU_DEP_1) | instskip(NEXT) | instid1(VALU_DEP_1)
	v_cndmask_b32_e64 v8, v8, v10, s4
	v_mul_f32_e32 v9, 0x37800000, v8
	s_delay_alu instid0(VALU_DEP_1) | instskip(SKIP_1) | instid1(VALU_DEP_2)
	v_cndmask_b32_e32 v8, v8, v9, vcc_lo
	v_cmp_class_f32_e64 vcc_lo, v7, 0x260
	v_cndmask_b32_e32 v7, v8, v7, vcc_lo
	v_cmp_nle_f32_e32 vcc_lo, 0, v6
	s_delay_alu instid0(VALU_DEP_2) | instskip(NEXT) | instid1(VALU_DEP_1)
	v_cndmask_b32_e64 v7, |v7|, -|v7|, vcc_lo
	v_add_f32_e32 v6, v6, v7
	s_delay_alu instid0(VALU_DEP_1) | instskip(SKIP_1) | instid1(VALU_DEP_2)
	v_div_scale_f32 v7, null, v6, v6, v4
	v_div_scale_f32 v10, vcc_lo, v4, v6, v4
	v_rcp_f32_e32 v8, v7
	s_waitcnt_depctr 0xfff
	v_fma_f32 v9, -v7, v8, 1.0
	s_delay_alu instid0(VALU_DEP_1) | instskip(NEXT) | instid1(VALU_DEP_1)
	v_fmac_f32_e32 v8, v9, v8
	v_mul_f32_e32 v9, v10, v8
	s_delay_alu instid0(VALU_DEP_1) | instskip(NEXT) | instid1(VALU_DEP_1)
	v_fma_f32 v11, -v7, v9, v10
	v_fmac_f32_e32 v9, v11, v8
	s_delay_alu instid0(VALU_DEP_1) | instskip(NEXT) | instid1(VALU_DEP_1)
	v_fma_f32 v7, -v7, v9, v10
	v_div_fmas_f32 v7, v7, v8, v9
	s_delay_alu instid0(VALU_DEP_1) | instskip(SKIP_1) | instid1(VALU_DEP_2)
	v_div_fixup_f32 v4, v7, v6, v4
	v_mov_b32_e32 v6, 0
	v_sub_f32_e32 v4, v3, v4
	s_delay_alu instid0(VALU_DEP_1) | instskip(NEXT) | instid1(VALU_DEP_1)
	v_sub_f32_e32 v7, v5, v4
	v_mul_f32_e32 v8, v7, v7
	s_cbranch_scc1 .LBB3_75
; %bb.59:                               ;   in Loop: Header=BB3_49 Depth=2
	s_ashr_i32 s35, s34, 31
	s_delay_alu instid0(SALU_CYCLE_1) | instskip(NEXT) | instid1(SALU_CYCLE_1)
	s_lshl_b64 s[40:41], s[34:35], 2
	s_add_u32 s4, s49, s40
	s_addc_u32 s5, s50, s41
	global_load_b32 v5, v1, s[4:5]
	s_add_u32 s4, s51, s40
	s_addc_u32 s5, s52, s41
	global_load_b32 v10, v1, s[4:5]
	s_waitcnt vmcnt(1)
	v_add_f32_e32 v9, v8, v5
	s_delay_alu instid0(VALU_DEP_1) | instskip(NEXT) | instid1(VALU_DEP_1)
	v_div_scale_f32 v6, null, v9, v9, v8
	v_rcp_f32_e32 v12, v6
	s_waitcnt_depctr 0xfff
	v_fma_f32 v14, -v6, v12, 1.0
	s_delay_alu instid0(VALU_DEP_1) | instskip(SKIP_3) | instid1(VALU_DEP_3)
	v_fmac_f32_e32 v12, v14, v12
	v_div_scale_f32 v11, null, v9, v9, v5
	v_div_scale_f32 v16, vcc_lo, v8, v9, v8
	v_div_scale_f32 v14, s4, v5, v9, v5
	v_rcp_f32_e32 v13, v11
	s_waitcnt_depctr 0xfff
	v_fma_f32 v15, -v11, v13, 1.0
	s_delay_alu instid0(VALU_DEP_1) | instskip(SKIP_1) | instid1(VALU_DEP_2)
	v_fmac_f32_e32 v13, v15, v13
	v_mul_f32_e32 v15, v16, v12
	v_mul_f32_e32 v17, v14, v13
	s_delay_alu instid0(VALU_DEP_2) | instskip(NEXT) | instid1(VALU_DEP_2)
	v_fma_f32 v18, -v6, v15, v16
	v_fma_f32 v19, -v11, v17, v14
	s_delay_alu instid0(VALU_DEP_2) | instskip(NEXT) | instid1(VALU_DEP_2)
	v_fmac_f32_e32 v15, v18, v12
	v_fmac_f32_e32 v17, v19, v13
	s_delay_alu instid0(VALU_DEP_2) | instskip(NEXT) | instid1(VALU_DEP_2)
	v_fma_f32 v6, -v6, v15, v16
	v_fma_f32 v11, -v11, v17, v14
	s_delay_alu instid0(VALU_DEP_2)
	v_div_fmas_f32 v12, v6, v12, v15
	s_mov_b32 vcc_lo, s4
	s_add_u32 s4, s46, s40
	s_addc_u32 s5, s47, s41
	v_div_fmas_f32 v6, v11, v13, v17
	s_waitcnt vmcnt(0)
	v_sub_f32_e32 v11, v10, v4
	v_div_fixup_f32 v8, v12, v9, v8
	s_delay_alu instid0(VALU_DEP_3) | instskip(NEXT) | instid1(VALU_DEP_2)
	v_div_fixup_f32 v6, v6, v9, v5
	v_cmp_eq_f32_e32 vcc_lo, 0, v8
	s_delay_alu instid0(VALU_DEP_2) | instskip(SKIP_1) | instid1(VALU_DEP_1)
	v_mul_f32_e32 v9, v7, v6
	s_and_b32 vcc_lo, exec_lo, vcc_lo
	v_fma_f32 v9, v8, v11, -v9
	s_delay_alu instid0(VALU_DEP_1) | instskip(NEXT) | instid1(VALU_DEP_1)
	v_sub_f32_e32 v10, v10, v9
	v_add_f32_e32 v7, v7, v10
	global_store_b32 v1, v7, s[4:5]
	s_cbranch_vccnz .LBB3_61
; %bb.60:                               ;   in Loop: Header=BB3_49 Depth=2
	v_mul_f32_e32 v5, v9, v9
	s_delay_alu instid0(VALU_DEP_1) | instskip(NEXT) | instid1(VALU_DEP_1)
	v_div_scale_f32 v7, null, v8, v8, v5
	v_rcp_f32_e32 v10, v7
	s_waitcnt_depctr 0xfff
	v_fma_f32 v11, -v7, v10, 1.0
	s_delay_alu instid0(VALU_DEP_1) | instskip(SKIP_1) | instid1(VALU_DEP_1)
	v_fmac_f32_e32 v10, v11, v10
	v_div_scale_f32 v11, vcc_lo, v5, v8, v5
	v_mul_f32_e32 v12, v11, v10
	s_delay_alu instid0(VALU_DEP_1) | instskip(NEXT) | instid1(VALU_DEP_1)
	v_fma_f32 v13, -v7, v12, v11
	v_fmac_f32_e32 v12, v13, v10
	s_delay_alu instid0(VALU_DEP_1) | instskip(NEXT) | instid1(VALU_DEP_1)
	v_fma_f32 v7, -v7, v12, v11
	v_div_fmas_f32 v7, v7, v10, v12
	s_delay_alu instid0(VALU_DEP_1)
	v_div_fixup_f32 v5, v7, v8, v5
.LBB3_61:                               ;   in Loop: Header=BB3_49 Depth=2
	s_add_i32 s4, s34, -1
	s_delay_alu instid0(SALU_CYCLE_1)
	s_cmp_le_i32 s4, s28
	s_cbranch_scc1 .LBB3_73
; %bb.62:                               ;   in Loop: Header=BB3_49 Depth=2
	s_add_i32 s4, s34, -2
	s_mov_b32 s35, -1
	s_ashr_i32 s5, s4, 31
	s_delay_alu instid0(SALU_CYCLE_1) | instskip(NEXT) | instid1(SALU_CYCLE_1)
	s_lshl_b64 s[4:5], s[4:5], 2
	s_add_u32 s42, s59, s4
	s_addc_u32 s43, s60, s5
	s_add_u32 s44, s61, s4
	s_addc_u32 s45, s62, s5
.LBB3_63:                               ;   Parent Loop BB3_4 Depth=1
                                        ;     Parent Loop BB3_49 Depth=2
                                        ; =>    This Inner Loop Header: Depth=3
	global_load_b32 v10, v1, s[44:45] offset:-4
	s_add_u32 s40, s44, -4
	s_addc_u32 s41, s45, -1
	s_cmp_eq_u32 s35, 0
	s_waitcnt vmcnt(0)
	v_add_f32_e32 v7, v5, v10
	s_cbranch_scc1 .LBB3_65
; %bb.64:                               ;   in Loop: Header=BB3_63 Depth=3
	s_delay_alu instid0(VALU_DEP_1)
	v_mul_f32_e32 v6, v6, v7
	global_store_b32 v1, v6, s[44:45]
.LBB3_65:                               ;   in Loop: Header=BB3_63 Depth=3
	global_load_b32 v12, v1, s[42:43] offset:-4
	v_div_scale_f32 v6, null, v7, v7, v5
	v_div_scale_f32 v11, null, v7, v7, v10
	v_div_scale_f32 v17, vcc_lo, v5, v7, v5
	s_delay_alu instid0(VALU_DEP_3) | instskip(NEXT) | instid1(VALU_DEP_2)
	v_rcp_f32_e32 v13, v6
	v_rcp_f32_e32 v14, v11
	s_waitcnt_depctr 0xfff
	v_fma_f32 v15, -v6, v13, 1.0
	v_fma_f32 v16, -v11, v14, 1.0
	s_delay_alu instid0(VALU_DEP_1) | instskip(SKIP_1) | instid1(VALU_DEP_2)
	v_dual_fmac_f32 v13, v15, v13 :: v_dual_fmac_f32 v14, v16, v14
	v_div_scale_f32 v15, s4, v10, v7, v10
	v_mul_f32_e32 v16, v17, v13
	s_delay_alu instid0(VALU_DEP_2) | instskip(NEXT) | instid1(VALU_DEP_2)
	v_mul_f32_e32 v18, v15, v14
	v_fma_f32 v19, -v6, v16, v17
	s_delay_alu instid0(VALU_DEP_2) | instskip(NEXT) | instid1(VALU_DEP_2)
	v_fma_f32 v20, -v11, v18, v15
	v_fmac_f32_e32 v16, v19, v13
	s_delay_alu instid0(VALU_DEP_2) | instskip(NEXT) | instid1(VALU_DEP_2)
	v_fmac_f32_e32 v18, v20, v14
	v_fma_f32 v6, -v6, v16, v17
	s_delay_alu instid0(VALU_DEP_2) | instskip(NEXT) | instid1(VALU_DEP_2)
	v_fma_f32 v11, -v11, v18, v15
	v_div_fmas_f32 v13, v6, v13, v16
	s_mov_b32 vcc_lo, s4
	s_add_u32 s4, s42, -4
	s_delay_alu instid0(VALU_DEP_2) | instskip(SKIP_2) | instid1(VALU_DEP_2)
	v_div_fmas_f32 v6, v11, v14, v18
	s_addc_u32 s5, s43, -1
	v_div_fixup_f32 v11, v13, v7, v5
	v_div_fixup_f32 v6, v6, v7, v10
	s_delay_alu instid0(VALU_DEP_2) | instskip(NEXT) | instid1(VALU_DEP_2)
	v_cmp_eq_f32_e32 vcc_lo, 0, v11
	v_mul_f32_e32 v5, v9, v6
	s_and_b32 vcc_lo, exec_lo, vcc_lo
	s_waitcnt vmcnt(0)
	v_sub_f32_e32 v7, v12, v4
	s_delay_alu instid0(VALU_DEP_1) | instskip(NEXT) | instid1(VALU_DEP_1)
	v_fma_f32 v7, v11, v7, -v5
	v_sub_f32_e32 v5, v12, v7
	s_delay_alu instid0(VALU_DEP_1)
	v_add_f32_e32 v5, v9, v5
	global_store_b32 v1, v5, s[42:43]
	s_cbranch_vccz .LBB3_70
; %bb.66:                               ;   in Loop: Header=BB3_63 Depth=3
	v_mul_f32_e32 v5, v8, v10
	s_cbranch_execnz .LBB3_68
.LBB3_67:                               ;   in Loop: Header=BB3_63 Depth=3
	v_mul_f32_e32 v5, v7, v7
	s_delay_alu instid0(VALU_DEP_1) | instskip(NEXT) | instid1(VALU_DEP_1)
	v_div_scale_f32 v8, null, v11, v11, v5
	v_rcp_f32_e32 v9, v8
	s_waitcnt_depctr 0xfff
	v_fma_f32 v10, -v8, v9, 1.0
	s_delay_alu instid0(VALU_DEP_1) | instskip(SKIP_1) | instid1(VALU_DEP_1)
	v_fmac_f32_e32 v9, v10, v9
	v_div_scale_f32 v10, vcc_lo, v5, v11, v5
	v_mul_f32_e32 v12, v10, v9
	s_delay_alu instid0(VALU_DEP_1) | instskip(NEXT) | instid1(VALU_DEP_1)
	v_fma_f32 v13, -v8, v12, v10
	v_fmac_f32_e32 v12, v13, v9
	s_delay_alu instid0(VALU_DEP_1) | instskip(NEXT) | instid1(VALU_DEP_1)
	v_fma_f32 v8, -v8, v12, v10
	v_div_fmas_f32 v8, v8, v9, v12
	s_delay_alu instid0(VALU_DEP_1)
	v_div_fixup_f32 v5, v8, v11, v5
.LBB3_68:                               ;   in Loop: Header=BB3_63 Depth=3
	s_add_i32 s35, s35, -1
	s_delay_alu instid0(SALU_CYCLE_1) | instskip(NEXT) | instid1(SALU_CYCLE_1)
	s_add_i32 s42, s34, s35
	s_cmp_le_i32 s42, s28
	s_cbranch_scc1 .LBB3_74
; %bb.69:                               ;   in Loop: Header=BB3_63 Depth=3
	v_mov_b32_e32 v8, v11
	v_mov_b32_e32 v9, v7
	s_mov_b64 s[44:45], s[40:41]
	s_mov_b64 s[42:43], s[4:5]
	s_branch .LBB3_63
.LBB3_70:                               ;   in Loop: Header=BB3_63 Depth=3
                                        ; implicit-def: $vgpr5
	s_branch .LBB3_67
.LBB3_71:                               ;   in Loop: Header=BB3_49 Depth=2
                                        ; implicit-def: $sgpr35
	s_cbranch_execz .LBB3_48
	s_branch .LBB3_95
.LBB3_72:                               ;   in Loop: Header=BB3_49 Depth=2
	s_mov_b32 s5, 0
                                        ; implicit-def: $sgpr35
                                        ; implicit-def: $sgpr4
                                        ; implicit-def: $sgpr40
	s_cbranch_execnz .LBB3_77
	s_branch .LBB3_94
.LBB3_73:                               ;   in Loop: Header=BB3_49 Depth=2
	v_mov_b32_e32 v7, v9
.LBB3_74:                               ;   in Loop: Header=BB3_49 Depth=2
	v_mov_b32_e32 v8, v5
.LBB3_75:                               ;   in Loop: Header=BB3_49 Depth=2
	s_delay_alu instid0(VALU_DEP_1)
	v_dual_mul_f32 v5, v6, v8 :: v_dual_add_f32 v4, v4, v7
	s_add_i32 s40, s27, 1
	s_mov_b32 s5, -1
	s_clause 0x1
	global_store_b32 v1, v5, s[38:39]
	global_store_b32 v1, v4, s[30:31]
.LBB3_76:                               ;   in Loop: Header=BB3_49 Depth=2
	s_mov_b32 s35, s16
	s_mov_b32 s4, s28
	s_and_b32 vcc_lo, exec_lo, s67
	s_cbranch_vccz .LBB3_94
.LBB3_77:                               ;   in Loop: Header=BB3_49 Depth=2
	s_add_u32 s36, s10, s36
	s_addc_u32 s37, s11, s37
	s_mov_b32 s35, s15
	global_load_b32 v4, v1, s[36:37]
	s_lshl_b64 s[4:5], s[34:35], 2
	s_delay_alu instid0(SALU_CYCLE_1)
	s_add_u32 s34, s46, s4
	s_addc_u32 s35, s47, s5
	global_load_b32 v5, v1, s[34:35]
	s_waitcnt vmcnt(1)
	v_mul_f32_e32 v6, 0x4f800000, v4
	v_cmp_gt_f32_e32 vcc_lo, 0xf800000, v4
	s_delay_alu instid0(VALU_DEP_2) | instskip(NEXT) | instid1(VALU_DEP_1)
	v_cndmask_b32_e32 v4, v4, v6, vcc_lo
	v_sqrt_f32_e32 v6, v4
	s_waitcnt_depctr 0xfff
	v_add_nc_u32_e32 v7, -1, v6
	v_add_nc_u32_e32 v8, 1, v6
	s_delay_alu instid0(VALU_DEP_2) | instskip(NEXT) | instid1(VALU_DEP_2)
	v_fma_f32 v9, -v7, v6, v4
	v_fma_f32 v10, -v8, v6, v4
	s_delay_alu instid0(VALU_DEP_2) | instskip(NEXT) | instid1(VALU_DEP_1)
	v_cmp_ge_f32_e64 s4, 0, v9
	v_cndmask_b32_e64 v6, v6, v7, s4
	s_delay_alu instid0(VALU_DEP_3) | instskip(NEXT) | instid1(VALU_DEP_1)
	v_cmp_lt_f32_e64 s4, 0, v10
	v_cndmask_b32_e64 v6, v6, v8, s4
	s_delay_alu instid0(VALU_DEP_1) | instskip(NEXT) | instid1(VALU_DEP_1)
	v_mul_f32_e32 v7, 0x37800000, v6
	v_cndmask_b32_e32 v6, v6, v7, vcc_lo
	v_cmp_class_f32_e64 vcc_lo, v4, 0x260
	s_waitcnt vmcnt(0)
	s_delay_alu instid0(VALU_DEP_2) | instskip(NEXT) | instid1(VALU_DEP_1)
	v_dual_sub_f32 v7, v3, v5 :: v_dual_cndmask_b32 v4, v6, v4
	v_add_f32_e32 v8, v4, v4
	s_delay_alu instid0(VALU_DEP_1) | instskip(SKIP_1) | instid1(VALU_DEP_2)
	v_cmp_ngt_f32_e64 s4, |v7|, |v8|
	v_and_b32_e32 v9, 0x7fffffff, v8
	s_and_b32 vcc_lo, exec_lo, s4
	s_cbranch_vccz .LBB3_80
; %bb.78:                               ;   in Loop: Header=BB3_49 Depth=2
	v_cmp_nlt_f32_e64 s4, |v7|, |v8|
	s_delay_alu instid0(VALU_DEP_1)
	s_and_b32 vcc_lo, exec_lo, s4
	s_cbranch_vccz .LBB3_81
; %bb.79:                               ;   in Loop: Header=BB3_49 Depth=2
	v_cvt_f64_f32_e32 v[10:11], v9
	s_delay_alu instid0(VALU_DEP_1) | instskip(NEXT) | instid1(VALU_DEP_1)
	v_mul_f64 v[10:11], v[10:11], s[12:13]
	v_cvt_f32_f64_e32 v6, v[10:11]
	s_cbranch_execz .LBB3_82
	s_branch .LBB3_83
.LBB3_80:                               ;   in Loop: Header=BB3_49 Depth=2
                                        ; implicit-def: $vgpr6
	s_branch .LBB3_84
.LBB3_81:                               ;   in Loop: Header=BB3_49 Depth=2
                                        ; implicit-def: $vgpr6
.LBB3_82:                               ;   in Loop: Header=BB3_49 Depth=2
	v_and_b32_e32 v6, 0x7fffffff, v7
	s_delay_alu instid0(VALU_DEP_1) | instskip(SKIP_1) | instid1(VALU_DEP_2)
	v_div_scale_f32 v10, null, v9, v9, v6
	v_div_scale_f32 v6, vcc_lo, v6, v9, v6
	v_rcp_f32_e32 v11, v10
	s_waitcnt_depctr 0xfff
	v_fma_f32 v12, -v10, v11, 1.0
	s_delay_alu instid0(VALU_DEP_1) | instskip(NEXT) | instid1(VALU_DEP_1)
	v_fmac_f32_e32 v11, v12, v11
	v_mul_f32_e32 v12, v6, v11
	s_delay_alu instid0(VALU_DEP_1) | instskip(NEXT) | instid1(VALU_DEP_1)
	v_fma_f32 v13, -v10, v12, v6
	v_fmac_f32_e32 v12, v13, v11
	s_delay_alu instid0(VALU_DEP_1) | instskip(NEXT) | instid1(VALU_DEP_1)
	v_fma_f32 v6, -v10, v12, v6
	v_div_fmas_f32 v6, v6, v11, v12
	s_delay_alu instid0(VALU_DEP_1) | instskip(NEXT) | instid1(VALU_DEP_1)
	v_div_fixup_f32 v6, v6, |v8|, |v7|
	v_fma_f32 v6, v6, v6, 1.0
	s_delay_alu instid0(VALU_DEP_1) | instskip(SKIP_1) | instid1(VALU_DEP_2)
	v_mul_f32_e32 v10, 0x4f800000, v6
	v_cmp_gt_f32_e32 vcc_lo, 0xf800000, v6
	v_cndmask_b32_e32 v6, v6, v10, vcc_lo
	s_delay_alu instid0(VALU_DEP_1) | instskip(SKIP_3) | instid1(VALU_DEP_2)
	v_sqrt_f32_e32 v10, v6
	s_waitcnt_depctr 0xfff
	v_add_nc_u32_e32 v11, -1, v10
	v_add_nc_u32_e32 v12, 1, v10
	v_fma_f32 v13, -v11, v10, v6
	s_delay_alu instid0(VALU_DEP_2) | instskip(NEXT) | instid1(VALU_DEP_2)
	v_fma_f32 v14, -v12, v10, v6
	v_cmp_ge_f32_e64 s4, 0, v13
	s_delay_alu instid0(VALU_DEP_1) | instskip(NEXT) | instid1(VALU_DEP_3)
	v_cndmask_b32_e64 v10, v10, v11, s4
	v_cmp_lt_f32_e64 s4, 0, v14
	s_delay_alu instid0(VALU_DEP_1) | instskip(NEXT) | instid1(VALU_DEP_1)
	v_cndmask_b32_e64 v10, v10, v12, s4
	v_mul_f32_e32 v11, 0x37800000, v10
	s_delay_alu instid0(VALU_DEP_1) | instskip(SKIP_1) | instid1(VALU_DEP_2)
	v_cndmask_b32_e32 v10, v10, v11, vcc_lo
	v_cmp_class_f32_e64 vcc_lo, v6, 0x260
	v_cndmask_b32_e32 v6, v10, v6, vcc_lo
	s_delay_alu instid0(VALU_DEP_1)
	v_mul_f32_e64 v6, |v8|, v6
.LBB3_83:                               ;   in Loop: Header=BB3_49 Depth=2
	s_cbranch_execnz .LBB3_85
.LBB3_84:                               ;   in Loop: Header=BB3_49 Depth=2
	v_and_b32_e32 v6, 0x7fffffff, v7
	s_delay_alu instid0(VALU_DEP_1) | instskip(SKIP_1) | instid1(VALU_DEP_2)
	v_div_scale_f32 v10, null, v6, v6, v9
	v_div_scale_f32 v6, vcc_lo, v9, v6, v9
	v_rcp_f32_e32 v11, v10
	s_waitcnt_depctr 0xfff
	v_fma_f32 v12, -v10, v11, 1.0
	s_delay_alu instid0(VALU_DEP_1) | instskip(NEXT) | instid1(VALU_DEP_1)
	v_fmac_f32_e32 v11, v12, v11
	v_mul_f32_e32 v9, v6, v11
	s_delay_alu instid0(VALU_DEP_1) | instskip(NEXT) | instid1(VALU_DEP_1)
	v_fma_f32 v12, -v10, v9, v6
	v_fmac_f32_e32 v9, v12, v11
	s_delay_alu instid0(VALU_DEP_1) | instskip(NEXT) | instid1(VALU_DEP_1)
	v_fma_f32 v6, -v10, v9, v6
	v_div_fmas_f32 v6, v6, v11, v9
	s_delay_alu instid0(VALU_DEP_1) | instskip(NEXT) | instid1(VALU_DEP_1)
	v_div_fixup_f32 v6, v6, |v7|, |v8|
	v_fma_f32 v6, v6, v6, 1.0
	s_delay_alu instid0(VALU_DEP_1) | instskip(SKIP_1) | instid1(VALU_DEP_2)
	v_mul_f32_e32 v8, 0x4f800000, v6
	v_cmp_gt_f32_e32 vcc_lo, 0xf800000, v6
	v_cndmask_b32_e32 v6, v6, v8, vcc_lo
	s_delay_alu instid0(VALU_DEP_1) | instskip(SKIP_3) | instid1(VALU_DEP_2)
	v_sqrt_f32_e32 v8, v6
	s_waitcnt_depctr 0xfff
	v_add_nc_u32_e32 v9, -1, v8
	v_add_nc_u32_e32 v10, 1, v8
	v_fma_f32 v11, -v9, v8, v6
	s_delay_alu instid0(VALU_DEP_2) | instskip(NEXT) | instid1(VALU_DEP_2)
	v_fma_f32 v12, -v10, v8, v6
	v_cmp_ge_f32_e64 s4, 0, v11
	s_delay_alu instid0(VALU_DEP_1) | instskip(NEXT) | instid1(VALU_DEP_3)
	v_cndmask_b32_e64 v8, v8, v9, s4
	v_cmp_lt_f32_e64 s4, 0, v12
	s_delay_alu instid0(VALU_DEP_1) | instskip(NEXT) | instid1(VALU_DEP_1)
	v_cndmask_b32_e64 v8, v8, v10, s4
	v_mul_f32_e32 v9, 0x37800000, v8
	s_delay_alu instid0(VALU_DEP_1) | instskip(SKIP_1) | instid1(VALU_DEP_2)
	v_cndmask_b32_e32 v8, v8, v9, vcc_lo
	v_cmp_class_f32_e64 vcc_lo, v6, 0x260
	v_cndmask_b32_e32 v6, v8, v6, vcc_lo
	s_delay_alu instid0(VALU_DEP_1)
	v_mul_f32_e64 v6, |v7|, v6
.LBB3_85:                               ;   in Loop: Header=BB3_49 Depth=2
	v_cmp_gt_f32_e64 vcc_lo, |v3|, |v5|
	v_add_f32_e32 v8, v3, v5
	v_cndmask_b32_e32 v7, v3, v5, vcc_lo
	v_cndmask_b32_e32 v5, v5, v3, vcc_lo
	s_delay_alu instid0(VALU_DEP_3) | instskip(NEXT) | instid1(VALU_DEP_1)
	v_cmp_ngt_f32_e64 s4, 0, v8
	s_and_b32 vcc_lo, exec_lo, s4
	s_cbranch_vccz .LBB3_88
; %bb.86:                               ;   in Loop: Header=BB3_49 Depth=2
	v_cmp_nlt_f32_e32 vcc_lo, 0, v8
	s_cbranch_vccz .LBB3_89
; %bb.87:                               ;   in Loop: Header=BB3_49 Depth=2
	v_mul_f32_e32 v3, 0.5, v6
	v_mul_f32_e32 v9, -0.5, v6
	s_cbranch_execz .LBB3_90
	s_branch .LBB3_91
.LBB3_88:                               ;   in Loop: Header=BB3_49 Depth=2
                                        ; implicit-def: $vgpr9
                                        ; implicit-def: $vgpr3
	s_branch .LBB3_92
.LBB3_89:                               ;   in Loop: Header=BB3_49 Depth=2
                                        ; implicit-def: $vgpr9
                                        ; implicit-def: $vgpr3
.LBB3_90:                               ;   in Loop: Header=BB3_49 Depth=2
	v_add_f32_e32 v3, v8, v6
	v_cvt_f64_f32_e32 v[9:10], v5
	v_cvt_f64_f32_e32 v[13:14], v4
	s_delay_alu instid0(VALU_DEP_3) | instskip(NEXT) | instid1(VALU_DEP_1)
	v_mul_f32_e32 v3, 0.5, v3
	v_cvt_f64_f32_e32 v[11:12], v3
	s_delay_alu instid0(VALU_DEP_1) | instskip(NEXT) | instid1(VALU_DEP_4)
	v_div_scale_f64 v[15:16], null, v[11:12], v[11:12], v[9:10]
	v_div_scale_f64 v[17:18], null, v[11:12], v[11:12], v[13:14]
	v_div_scale_f64 v[27:28], vcc_lo, v[9:10], v[11:12], v[9:10]
	s_delay_alu instid0(VALU_DEP_3) | instskip(NEXT) | instid1(VALU_DEP_2)
	v_rcp_f64_e32 v[19:20], v[15:16]
	v_rcp_f64_e32 v[21:22], v[17:18]
	s_waitcnt_depctr 0xfff
	v_fma_f64 v[23:24], -v[15:16], v[19:20], 1.0
	v_fma_f64 v[25:26], -v[17:18], v[21:22], 1.0
	s_delay_alu instid0(VALU_DEP_2) | instskip(NEXT) | instid1(VALU_DEP_2)
	v_fma_f64 v[19:20], v[19:20], v[23:24], v[19:20]
	v_fma_f64 v[21:22], v[21:22], v[25:26], v[21:22]
	s_delay_alu instid0(VALU_DEP_2) | instskip(NEXT) | instid1(VALU_DEP_2)
	v_fma_f64 v[23:24], -v[15:16], v[19:20], 1.0
	v_fma_f64 v[25:26], -v[17:18], v[21:22], 1.0
	s_delay_alu instid0(VALU_DEP_2) | instskip(SKIP_1) | instid1(VALU_DEP_3)
	v_fma_f64 v[19:20], v[19:20], v[23:24], v[19:20]
	v_div_scale_f64 v[23:24], s4, v[13:14], v[11:12], v[13:14]
	v_fma_f64 v[21:22], v[21:22], v[25:26], v[21:22]
	s_delay_alu instid0(VALU_DEP_3) | instskip(NEXT) | instid1(VALU_DEP_2)
	v_mul_f64 v[25:26], v[27:28], v[19:20]
	v_mul_f64 v[29:30], v[23:24], v[21:22]
	s_delay_alu instid0(VALU_DEP_2) | instskip(NEXT) | instid1(VALU_DEP_2)
	v_fma_f64 v[15:16], -v[15:16], v[25:26], v[27:28]
	v_fma_f64 v[17:18], -v[17:18], v[29:30], v[23:24]
	s_delay_alu instid0(VALU_DEP_2) | instskip(SKIP_1) | instid1(VALU_DEP_2)
	v_div_fmas_f64 v[15:16], v[15:16], v[19:20], v[25:26]
	s_mov_b32 vcc_lo, s4
	v_div_fmas_f64 v[17:18], v[17:18], v[21:22], v[29:30]
	s_delay_alu instid0(VALU_DEP_2) | instskip(NEXT) | instid1(VALU_DEP_2)
	v_div_fixup_f64 v[9:10], v[15:16], v[11:12], v[9:10]
	v_div_fixup_f64 v[17:18], v[17:18], v[11:12], v[13:14]
	v_cvt_f64_f32_e32 v[11:12], v7
	s_delay_alu instid0(VALU_DEP_2) | instskip(NEXT) | instid1(VALU_DEP_1)
	v_mul_f64 v[13:14], v[17:18], v[13:14]
	v_fma_f64 v[9:10], v[9:10], v[11:12], -v[13:14]
	s_delay_alu instid0(VALU_DEP_1)
	v_cvt_f32_f64_e32 v9, v[9:10]
.LBB3_91:                               ;   in Loop: Header=BB3_49 Depth=2
	s_cbranch_execnz .LBB3_93
.LBB3_92:                               ;   in Loop: Header=BB3_49 Depth=2
	v_sub_f32_e32 v3, v8, v6
	v_cvt_f64_f32_e32 v[5:6], v5
	v_cvt_f64_f32_e32 v[10:11], v4
	s_delay_alu instid0(VALU_DEP_3) | instskip(NEXT) | instid1(VALU_DEP_1)
	v_mul_f32_e32 v3, 0.5, v3
	v_cvt_f64_f32_e32 v[8:9], v3
	s_delay_alu instid0(VALU_DEP_1) | instskip(NEXT) | instid1(VALU_DEP_4)
	v_div_scale_f64 v[12:13], null, v[8:9], v[8:9], v[5:6]
	v_div_scale_f64 v[14:15], null, v[8:9], v[8:9], v[10:11]
	v_div_scale_f64 v[24:25], vcc_lo, v[5:6], v[8:9], v[5:6]
	s_delay_alu instid0(VALU_DEP_3) | instskip(NEXT) | instid1(VALU_DEP_2)
	v_rcp_f64_e32 v[16:17], v[12:13]
	v_rcp_f64_e32 v[18:19], v[14:15]
	s_waitcnt_depctr 0xfff
	v_fma_f64 v[20:21], -v[12:13], v[16:17], 1.0
	v_fma_f64 v[22:23], -v[14:15], v[18:19], 1.0
	s_delay_alu instid0(VALU_DEP_2) | instskip(NEXT) | instid1(VALU_DEP_2)
	v_fma_f64 v[16:17], v[16:17], v[20:21], v[16:17]
	v_fma_f64 v[18:19], v[18:19], v[22:23], v[18:19]
	s_delay_alu instid0(VALU_DEP_2) | instskip(NEXT) | instid1(VALU_DEP_2)
	v_fma_f64 v[20:21], -v[12:13], v[16:17], 1.0
	v_fma_f64 v[22:23], -v[14:15], v[18:19], 1.0
	s_delay_alu instid0(VALU_DEP_2) | instskip(SKIP_1) | instid1(VALU_DEP_3)
	v_fma_f64 v[16:17], v[16:17], v[20:21], v[16:17]
	v_div_scale_f64 v[20:21], s4, v[10:11], v[8:9], v[10:11]
	v_fma_f64 v[18:19], v[18:19], v[22:23], v[18:19]
	s_delay_alu instid0(VALU_DEP_3) | instskip(NEXT) | instid1(VALU_DEP_2)
	v_mul_f64 v[22:23], v[24:25], v[16:17]
	v_mul_f64 v[26:27], v[20:21], v[18:19]
	s_delay_alu instid0(VALU_DEP_2) | instskip(NEXT) | instid1(VALU_DEP_2)
	v_fma_f64 v[12:13], -v[12:13], v[22:23], v[24:25]
	v_fma_f64 v[14:15], -v[14:15], v[26:27], v[20:21]
	s_delay_alu instid0(VALU_DEP_2) | instskip(SKIP_1) | instid1(VALU_DEP_2)
	v_div_fmas_f64 v[12:13], v[12:13], v[16:17], v[22:23]
	s_mov_b32 vcc_lo, s4
	v_div_fmas_f64 v[14:15], v[14:15], v[18:19], v[26:27]
	s_delay_alu instid0(VALU_DEP_2) | instskip(SKIP_1) | instid1(VALU_DEP_3)
	v_div_fixup_f64 v[4:5], v[12:13], v[8:9], v[5:6]
	v_cvt_f64_f32_e32 v[6:7], v7
	v_div_fixup_f64 v[14:15], v[14:15], v[8:9], v[10:11]
	s_delay_alu instid0(VALU_DEP_1) | instskip(NEXT) | instid1(VALU_DEP_1)
	v_mul_f64 v[8:9], v[14:15], v[10:11]
	v_fma_f64 v[4:5], v[4:5], v[6:7], -v[8:9]
	s_delay_alu instid0(VALU_DEP_1)
	v_cvt_f32_f64_e32 v9, v[4:5]
.LBB3_93:                               ;   in Loop: Header=BB3_49 Depth=2
	s_add_i32 s4, s28, 2
	s_mov_b32 s5, -1
	s_mov_b32 s40, s27
	s_clause 0x2
	global_store_b32 v1, v3, s[30:31]
	global_store_b32 v1, v9, s[34:35]
	global_store_b32 v1, v1, s[36:37]
                                        ; implicit-def: $sgpr35
.LBB3_94:                               ;   in Loop: Header=BB3_49 Depth=2
	s_mov_b32 s27, s40
	s_and_b32 vcc_lo, exec_lo, s5
	s_cbranch_vccz .LBB3_48
.LBB3_95:                               ;   in Loop: Header=BB3_49 Depth=2
	s_cmp_gt_i32 s4, s66
	s_mov_b32 s35, s27
	s_cselect_b32 s5, -1, 0
	s_cmp_ge_i32 s27, s16
	s_cselect_b32 s28, -1, 0
	s_delay_alu instid0(SALU_CYCLE_1)
	s_or_b32 s29, s5, s28
	s_branch .LBB3_48
.LBB3_96:                               ;   in Loop: Header=BB3_97 Depth=2
	s_and_not1_b32 vcc_lo, exec_lo, s27
	s_mov_b32 s26, s3
	s_cbranch_vccz .LBB3_143
.LBB3_97:                               ;   Parent Loop BB3_4 Depth=1
                                        ; =>  This Loop Header: Depth=2
                                        ;       Child Loop BB3_99 Depth 3
                                        ;       Child Loop BB3_112 Depth 3
	s_ashr_i32 s27, s26, 31
	s_min_i32 s28, s66, s26
	s_lshl_b64 s[30:31], s[26:27], 2
	s_mov_b32 s27, s26
	s_add_u32 s34, s57, s30
	s_addc_u32 s35, s58, s31
	s_add_u32 s4, s61, s30
	s_addc_u32 s5, s62, s31
	s_branch .LBB3_99
	.p2align	6
.LBB3_98:                               ;   in Loop: Header=BB3_99 Depth=3
	s_delay_alu instid0(VALU_DEP_1)
	s_and_not1_b32 vcc_lo, exec_lo, s36
	s_cbranch_vccz .LBB3_101
.LBB3_99:                               ;   Parent Loop BB3_4 Depth=1
                                        ;     Parent Loop BB3_97 Depth=2
                                        ; =>    This Inner Loop Header: Depth=3
	s_mov_b32 s3, s27
	s_mov_b32 s29, -1
	s_cmp_le_i32 s27, s66
	s_mov_b32 s36, -1
                                        ; implicit-def: $sgpr27
	s_cbranch_scc1 .LBB3_98
; %bb.100:                              ;   in Loop: Header=BB3_99 Depth=3
	s_clause 0x1
	global_load_b64 v[3:4], v1, s[34:35] offset:-4
	global_load_b32 v5, v1, s[4:5] offset:-8
	s_add_i32 s27, s3, -1
	s_add_u32 s34, s34, -4
	s_addc_u32 s35, s35, -1
	s_add_u32 s4, s4, -4
	s_addc_u32 s5, s5, -1
	s_mov_b32 s29, 0
	s_waitcnt vmcnt(1)
	v_mul_f32_e32 v3, v4, v3
	s_delay_alu instid0(VALU_DEP_1) | instskip(SKIP_1) | instid1(VALU_DEP_1)
	v_mul_f32_e64 v3, v0, |v3|
	s_waitcnt vmcnt(0)
	v_cmp_le_f32_e64 s36, |v5|, v3
	s_branch .LBB3_98
.LBB3_101:                              ;   in Loop: Header=BB3_97 Depth=2
	s_and_not1_b32 vcc_lo, exec_lo, s29
	s_cbranch_vccz .LBB3_103
; %bb.102:                              ;   in Loop: Header=BB3_97 Depth=2
	s_mov_b32 s28, s3
	global_store_b32 v1, v1, s[4:5] offset:-4
.LBB3_103:                              ;   in Loop: Header=BB3_97 Depth=2
	s_add_i32 s3, s26, -1
	s_cmp_eq_u32 s28, s26
	s_mov_b32 s27, -1
	s_cbranch_scc1 .LBB3_118
; %bb.104:                              ;   in Loop: Header=BB3_97 Depth=2
	s_add_u32 s4, s46, s30
	s_addc_u32 s5, s47, s31
	s_cmp_lg_u32 s28, s3
	global_load_b32 v3, v1, s[4:5]
	s_cbranch_scc0 .LBB3_119
; %bb.105:                              ;   in Loop: Header=BB3_97 Depth=2
	s_mov_b32 s38, 0
	s_cmp_lg_u32 s64, s16
	s_mov_b32 s34, 0
                                        ; implicit-def: $sgpr35
	s_cbranch_scc0 .LBB3_123
; %bb.106:                              ;   in Loop: Header=BB3_97 Depth=2
	s_add_u32 s30, s49, s30
	s_addc_u32 s31, s50, s31
	s_ashr_i32 s29, s28, 31
	global_load_b32 v4, v1, s[30:31]
	s_lshl_b64 s[36:37], s[28:29], 2
	s_delay_alu instid0(SALU_CYCLE_1)
	s_add_u32 s34, s46, s36
	s_addc_u32 s35, s47, s37
	s_clause 0x1
	global_load_b32 v5, v1, s[34:35]
	global_load_b32 v6, v1, s[4:5] offset:-4
	s_cmp_ge_i32 s28, s26
	s_waitcnt vmcnt(2)
	v_mul_f32_e32 v7, 0x4f800000, v4
	v_cmp_gt_f32_e32 vcc_lo, 0xf800000, v4
	s_waitcnt vmcnt(0)
	v_sub_f32_e32 v6, v6, v3
	s_delay_alu instid0(VALU_DEP_3) | instskip(NEXT) | instid1(VALU_DEP_1)
	v_cndmask_b32_e32 v4, v4, v7, vcc_lo
	v_sqrt_f32_e32 v7, v4
	s_waitcnt_depctr 0xfff
	v_add_nc_u32_e32 v8, -1, v7
	v_add_nc_u32_e32 v9, 1, v7
	s_delay_alu instid0(VALU_DEP_2) | instskip(NEXT) | instid1(VALU_DEP_2)
	v_fma_f32 v10, -v8, v7, v4
	v_fma_f32 v11, -v9, v7, v4
	s_delay_alu instid0(VALU_DEP_2) | instskip(NEXT) | instid1(VALU_DEP_1)
	v_cmp_ge_f32_e64 s3, 0, v10
	v_cndmask_b32_e64 v7, v7, v8, s3
	s_delay_alu instid0(VALU_DEP_3) | instskip(NEXT) | instid1(VALU_DEP_1)
	v_cmp_lt_f32_e64 s3, 0, v11
	v_cndmask_b32_e64 v7, v7, v9, s3
	s_delay_alu instid0(VALU_DEP_1) | instskip(NEXT) | instid1(VALU_DEP_1)
	v_mul_f32_e32 v8, 0x37800000, v7
	v_cndmask_b32_e32 v7, v7, v8, vcc_lo
	v_cmp_class_f32_e64 vcc_lo, v4, 0x260
	s_delay_alu instid0(VALU_DEP_2) | instskip(NEXT) | instid1(VALU_DEP_1)
	v_cndmask_b32_e32 v4, v7, v4, vcc_lo
	v_add_f32_e32 v7, v4, v4
	s_delay_alu instid0(VALU_DEP_1) | instskip(SKIP_1) | instid1(VALU_DEP_2)
	v_div_scale_f32 v8, null, v7, v7, v6
	v_div_scale_f32 v11, vcc_lo, v6, v7, v6
	v_rcp_f32_e32 v9, v8
	s_waitcnt_depctr 0xfff
	v_fma_f32 v10, -v8, v9, 1.0
	s_delay_alu instid0(VALU_DEP_1) | instskip(NEXT) | instid1(VALU_DEP_1)
	v_fmac_f32_e32 v9, v10, v9
	v_mul_f32_e32 v10, v11, v9
	s_delay_alu instid0(VALU_DEP_1) | instskip(NEXT) | instid1(VALU_DEP_1)
	v_fma_f32 v12, -v8, v10, v11
	v_fmac_f32_e32 v10, v12, v9
	s_delay_alu instid0(VALU_DEP_1) | instskip(NEXT) | instid1(VALU_DEP_1)
	v_fma_f32 v8, -v8, v10, v11
	v_div_fmas_f32 v8, v8, v9, v10
	s_delay_alu instid0(VALU_DEP_1) | instskip(NEXT) | instid1(VALU_DEP_1)
	v_div_fixup_f32 v6, v8, v7, v6
	v_fma_f32 v7, v6, v6, 1.0
	s_delay_alu instid0(VALU_DEP_1) | instskip(SKIP_1) | instid1(VALU_DEP_2)
	v_mul_f32_e32 v8, 0x4f800000, v7
	v_cmp_gt_f32_e32 vcc_lo, 0xf800000, v7
	v_cndmask_b32_e32 v7, v7, v8, vcc_lo
	s_delay_alu instid0(VALU_DEP_1) | instskip(SKIP_3) | instid1(VALU_DEP_2)
	v_sqrt_f32_e32 v8, v7
	s_waitcnt_depctr 0xfff
	v_add_nc_u32_e32 v9, -1, v8
	v_add_nc_u32_e32 v10, 1, v8
	v_fma_f32 v11, -v9, v8, v7
	s_delay_alu instid0(VALU_DEP_2) | instskip(NEXT) | instid1(VALU_DEP_2)
	v_fma_f32 v12, -v10, v8, v7
	v_cmp_ge_f32_e64 s3, 0, v11
	s_delay_alu instid0(VALU_DEP_1) | instskip(NEXT) | instid1(VALU_DEP_3)
	v_cndmask_b32_e64 v8, v8, v9, s3
	v_cmp_lt_f32_e64 s3, 0, v12
	s_delay_alu instid0(VALU_DEP_1) | instskip(NEXT) | instid1(VALU_DEP_1)
	v_cndmask_b32_e64 v8, v8, v10, s3
	v_mul_f32_e32 v9, 0x37800000, v8
	s_delay_alu instid0(VALU_DEP_1) | instskip(SKIP_1) | instid1(VALU_DEP_2)
	v_cndmask_b32_e32 v8, v8, v9, vcc_lo
	v_cmp_class_f32_e64 vcc_lo, v7, 0x260
	v_cndmask_b32_e32 v7, v8, v7, vcc_lo
	v_cmp_nle_f32_e32 vcc_lo, 0, v6
	s_delay_alu instid0(VALU_DEP_2) | instskip(NEXT) | instid1(VALU_DEP_1)
	v_cndmask_b32_e64 v7, |v7|, -|v7|, vcc_lo
	v_add_f32_e32 v6, v6, v7
	s_delay_alu instid0(VALU_DEP_1) | instskip(SKIP_1) | instid1(VALU_DEP_2)
	v_div_scale_f32 v7, null, v6, v6, v4
	v_div_scale_f32 v10, vcc_lo, v4, v6, v4
	v_rcp_f32_e32 v8, v7
	s_waitcnt_depctr 0xfff
	v_fma_f32 v9, -v7, v8, 1.0
	s_delay_alu instid0(VALU_DEP_1) | instskip(NEXT) | instid1(VALU_DEP_1)
	v_fmac_f32_e32 v8, v9, v8
	v_mul_f32_e32 v9, v10, v8
	s_delay_alu instid0(VALU_DEP_1) | instskip(NEXT) | instid1(VALU_DEP_1)
	v_fma_f32 v11, -v7, v9, v10
	v_fmac_f32_e32 v9, v11, v8
	s_delay_alu instid0(VALU_DEP_1) | instskip(NEXT) | instid1(VALU_DEP_1)
	v_fma_f32 v7, -v7, v9, v10
	v_div_fmas_f32 v7, v7, v8, v9
	s_delay_alu instid0(VALU_DEP_1) | instskip(SKIP_1) | instid1(VALU_DEP_2)
	v_div_fixup_f32 v4, v7, v6, v4
	v_mov_b32_e32 v6, 0
	v_sub_f32_e32 v4, v3, v4
	s_delay_alu instid0(VALU_DEP_1) | instskip(NEXT) | instid1(VALU_DEP_1)
	v_sub_f32_e32 v7, v5, v4
	v_mul_f32_e32 v8, v7, v7
	s_cbranch_scc1 .LBB3_122
; %bb.107:                              ;   in Loop: Header=BB3_97 Depth=2
	s_add_u32 s36, s10, s36
	s_addc_u32 s37, s11, s37
	s_clause 0x1
	global_load_b32 v5, v1, s[36:37]
	global_load_b32 v10, v1, s[34:35] offset:4
	s_waitcnt vmcnt(1)
	v_add_f32_e32 v9, v8, v5
	s_delay_alu instid0(VALU_DEP_1) | instskip(NEXT) | instid1(VALU_DEP_1)
	v_div_scale_f32 v6, null, v9, v9, v8
	v_rcp_f32_e32 v12, v6
	s_waitcnt_depctr 0xfff
	v_fma_f32 v14, -v6, v12, 1.0
	s_delay_alu instid0(VALU_DEP_1) | instskip(SKIP_3) | instid1(VALU_DEP_3)
	v_fmac_f32_e32 v12, v14, v12
	v_div_scale_f32 v11, null, v9, v9, v5
	v_div_scale_f32 v16, vcc_lo, v8, v9, v8
	v_div_scale_f32 v14, s3, v5, v9, v5
	v_rcp_f32_e32 v13, v11
	s_waitcnt_depctr 0xfff
	v_fma_f32 v15, -v11, v13, 1.0
	s_delay_alu instid0(VALU_DEP_1) | instskip(SKIP_1) | instid1(VALU_DEP_2)
	v_fmac_f32_e32 v13, v15, v13
	v_mul_f32_e32 v15, v16, v12
	v_mul_f32_e32 v17, v14, v13
	s_delay_alu instid0(VALU_DEP_2) | instskip(NEXT) | instid1(VALU_DEP_2)
	v_fma_f32 v18, -v6, v15, v16
	v_fma_f32 v19, -v11, v17, v14
	s_delay_alu instid0(VALU_DEP_2) | instskip(NEXT) | instid1(VALU_DEP_2)
	v_fmac_f32_e32 v15, v18, v12
	v_fmac_f32_e32 v17, v19, v13
	s_delay_alu instid0(VALU_DEP_2) | instskip(NEXT) | instid1(VALU_DEP_2)
	v_fma_f32 v6, -v6, v15, v16
	v_fma_f32 v11, -v11, v17, v14
	s_delay_alu instid0(VALU_DEP_2) | instskip(SKIP_1) | instid1(VALU_DEP_2)
	v_div_fmas_f32 v12, v6, v12, v15
	s_mov_b32 vcc_lo, s3
	v_div_fmas_f32 v6, v11, v13, v17
	s_waitcnt vmcnt(0)
	v_sub_f32_e32 v11, v10, v4
	v_div_fixup_f32 v8, v12, v9, v8
	s_delay_alu instid0(VALU_DEP_3) | instskip(NEXT) | instid1(VALU_DEP_2)
	v_div_fixup_f32 v6, v6, v9, v5
	v_cmp_eq_f32_e32 vcc_lo, 0, v8
	s_delay_alu instid0(VALU_DEP_2) | instskip(SKIP_1) | instid1(VALU_DEP_1)
	v_mul_f32_e32 v9, v7, v6
	s_and_b32 vcc_lo, exec_lo, vcc_lo
	v_fma_f32 v9, v8, v11, -v9
	s_delay_alu instid0(VALU_DEP_1) | instskip(NEXT) | instid1(VALU_DEP_1)
	v_sub_f32_e32 v10, v10, v9
	v_add_f32_e32 v7, v7, v10
	global_store_b32 v1, v7, s[34:35]
	s_cbranch_vccnz .LBB3_109
; %bb.108:                              ;   in Loop: Header=BB3_97 Depth=2
	v_mul_f32_e32 v5, v9, v9
	s_delay_alu instid0(VALU_DEP_1) | instskip(NEXT) | instid1(VALU_DEP_1)
	v_div_scale_f32 v7, null, v8, v8, v5
	v_rcp_f32_e32 v10, v7
	s_waitcnt_depctr 0xfff
	v_fma_f32 v11, -v7, v10, 1.0
	s_delay_alu instid0(VALU_DEP_1) | instskip(SKIP_1) | instid1(VALU_DEP_1)
	v_fmac_f32_e32 v10, v11, v10
	v_div_scale_f32 v11, vcc_lo, v5, v8, v5
	v_mul_f32_e32 v12, v11, v10
	s_delay_alu instid0(VALU_DEP_1) | instskip(NEXT) | instid1(VALU_DEP_1)
	v_fma_f32 v13, -v7, v12, v11
	v_fmac_f32_e32 v12, v13, v10
	s_delay_alu instid0(VALU_DEP_1) | instskip(NEXT) | instid1(VALU_DEP_1)
	v_fma_f32 v7, -v7, v12, v11
	v_div_fmas_f32 v7, v7, v10, v12
	s_delay_alu instid0(VALU_DEP_1)
	v_div_fixup_f32 v5, v7, v8, v5
.LBB3_109:                              ;   in Loop: Header=BB3_97 Depth=2
	s_add_i32 s34, s28, 1
	s_delay_alu instid0(SALU_CYCLE_1)
	s_cmp_ge_i32 s34, s26
	s_cbranch_scc1 .LBB3_120
; %bb.110:                              ;   in Loop: Header=BB3_97 Depth=2
	s_ashr_i32 s35, s34, 31
	s_mov_b32 s29, 1
	s_lshl_b64 s[36:37], s[34:35], 2
	s_delay_alu instid0(SALU_CYCLE_1)
	s_add_u32 s34, s53, s36
	s_addc_u32 s35, s54, s37
	s_add_u32 s36, s59, s36
	s_addc_u32 s37, s60, s37
	global_load_b32 v10, v1, s[34:35]
	s_cmp_eq_u32 s29, 0
	s_waitcnt vmcnt(0)
	v_add_f32_e32 v7, v5, v10
	s_cbranch_scc1 .LBB3_112
.LBB3_111:                              ;   in Loop: Header=BB3_97 Depth=2
	s_delay_alu instid0(VALU_DEP_1)
	v_mul_f32_e32 v6, v6, v7
	global_store_b32 v1, v6, s[34:35] offset:-4
.LBB3_112:                              ;   Parent Loop BB3_4 Depth=1
                                        ;     Parent Loop BB3_97 Depth=2
                                        ; =>    This Inner Loop Header: Depth=3
	global_load_b32 v12, v1, s[36:37]
	v_div_scale_f32 v6, null, v7, v7, v5
	v_div_scale_f32 v11, null, v7, v7, v10
	v_div_scale_f32 v17, vcc_lo, v5, v7, v5
	s_delay_alu instid0(VALU_DEP_3) | instskip(NEXT) | instid1(VALU_DEP_2)
	v_rcp_f32_e32 v13, v6
	v_rcp_f32_e32 v14, v11
	s_waitcnt_depctr 0xfff
	v_fma_f32 v15, -v6, v13, 1.0
	v_fma_f32 v16, -v11, v14, 1.0
	s_delay_alu instid0(VALU_DEP_1) | instskip(SKIP_1) | instid1(VALU_DEP_2)
	v_dual_fmac_f32 v13, v15, v13 :: v_dual_fmac_f32 v14, v16, v14
	v_div_scale_f32 v15, s3, v10, v7, v10
	v_mul_f32_e32 v16, v17, v13
	s_delay_alu instid0(VALU_DEP_2) | instskip(NEXT) | instid1(VALU_DEP_2)
	v_mul_f32_e32 v18, v15, v14
	v_fma_f32 v19, -v6, v16, v17
	s_delay_alu instid0(VALU_DEP_2) | instskip(NEXT) | instid1(VALU_DEP_2)
	v_fma_f32 v20, -v11, v18, v15
	v_fmac_f32_e32 v16, v19, v13
	s_delay_alu instid0(VALU_DEP_2) | instskip(NEXT) | instid1(VALU_DEP_2)
	v_fmac_f32_e32 v18, v20, v14
	v_fma_f32 v6, -v6, v16, v17
	s_delay_alu instid0(VALU_DEP_2) | instskip(NEXT) | instid1(VALU_DEP_2)
	v_fma_f32 v11, -v11, v18, v15
	v_div_fmas_f32 v13, v6, v13, v16
	s_mov_b32 vcc_lo, s3
	s_delay_alu instid0(VALU_DEP_2) | instskip(NEXT) | instid1(VALU_DEP_2)
	v_div_fmas_f32 v6, v11, v14, v18
	v_div_fixup_f32 v11, v13, v7, v5
	s_delay_alu instid0(VALU_DEP_2) | instskip(NEXT) | instid1(VALU_DEP_2)
	v_div_fixup_f32 v6, v6, v7, v10
	v_cmp_eq_f32_e32 vcc_lo, 0, v11
	s_delay_alu instid0(VALU_DEP_2) | instskip(SKIP_3) | instid1(VALU_DEP_1)
	v_mul_f32_e32 v5, v9, v6
	s_and_b32 vcc_lo, exec_lo, vcc_lo
	s_waitcnt vmcnt(0)
	v_sub_f32_e32 v7, v12, v4
	v_fma_f32 v7, v11, v7, -v5
	s_delay_alu instid0(VALU_DEP_1) | instskip(NEXT) | instid1(VALU_DEP_1)
	v_sub_f32_e32 v5, v12, v7
	v_add_f32_e32 v5, v9, v5
	global_store_b32 v1, v5, s[36:37] offset:-4
	s_cbranch_vccz .LBB3_117
; %bb.113:                              ;   in Loop: Header=BB3_112 Depth=3
	v_mul_f32_e32 v5, v8, v10
	s_cbranch_execnz .LBB3_115
.LBB3_114:                              ;   in Loop: Header=BB3_112 Depth=3
	v_mul_f32_e32 v5, v7, v7
	s_delay_alu instid0(VALU_DEP_1) | instskip(NEXT) | instid1(VALU_DEP_1)
	v_div_scale_f32 v8, null, v11, v11, v5
	v_rcp_f32_e32 v9, v8
	s_waitcnt_depctr 0xfff
	v_fma_f32 v10, -v8, v9, 1.0
	s_delay_alu instid0(VALU_DEP_1) | instskip(SKIP_1) | instid1(VALU_DEP_1)
	v_fmac_f32_e32 v9, v10, v9
	v_div_scale_f32 v10, vcc_lo, v5, v11, v5
	v_mul_f32_e32 v12, v10, v9
	s_delay_alu instid0(VALU_DEP_1) | instskip(NEXT) | instid1(VALU_DEP_1)
	v_fma_f32 v13, -v8, v12, v10
	v_fmac_f32_e32 v12, v13, v9
	s_delay_alu instid0(VALU_DEP_1) | instskip(NEXT) | instid1(VALU_DEP_1)
	v_fma_f32 v8, -v8, v12, v10
	v_div_fmas_f32 v8, v8, v9, v12
	s_delay_alu instid0(VALU_DEP_1)
	v_div_fixup_f32 v5, v8, v11, v5
.LBB3_115:                              ;   in Loop: Header=BB3_112 Depth=3
	s_add_i32 s29, s29, 1
	s_delay_alu instid0(SALU_CYCLE_1)
	s_add_i32 s3, s28, s29
	s_add_u32 s34, s34, 4
	s_addc_u32 s35, s35, 0
	s_add_u32 s36, s36, 4
	s_addc_u32 s37, s37, 0
	s_cmp_ge_i32 s3, s26
	s_cbranch_scc1 .LBB3_121
; %bb.116:                              ;   in Loop: Header=BB3_112 Depth=3
	v_mov_b32_e32 v8, v11
	v_mov_b32_e32 v9, v7
	global_load_b32 v10, v1, s[34:35]
	s_cmp_eq_u32 s29, 0
	s_waitcnt vmcnt(0)
	v_add_f32_e32 v7, v5, v10
	s_cbranch_scc0 .LBB3_111
	s_branch .LBB3_112
.LBB3_117:                              ;   in Loop: Header=BB3_112 Depth=3
                                        ; implicit-def: $vgpr5
	s_branch .LBB3_114
.LBB3_118:                              ;   in Loop: Header=BB3_97 Depth=2
                                        ; implicit-def: $sgpr29
	s_cbranch_execz .LBB3_96
	s_branch .LBB3_142
.LBB3_119:                              ;   in Loop: Header=BB3_97 Depth=2
	s_mov_b32 s34, 0
                                        ; implicit-def: $sgpr29
                                        ; implicit-def: $sgpr3
                                        ; implicit-def: $sgpr35
	s_cbranch_execnz .LBB3_124
	s_branch .LBB3_141
.LBB3_120:                              ;   in Loop: Header=BB3_97 Depth=2
	v_mov_b32_e32 v7, v9
.LBB3_121:                              ;   in Loop: Header=BB3_97 Depth=2
	v_mov_b32_e32 v8, v5
.LBB3_122:                              ;   in Loop: Header=BB3_97 Depth=2
	s_delay_alu instid0(VALU_DEP_1) | instskip(NEXT) | instid1(VALU_DEP_3)
	v_mul_f32_e32 v5, v8, v6
	v_add_f32_e32 v4, v4, v7
	s_add_i32 s35, s64, 1
	s_mov_b32 s34, -1
	s_clause 0x1
	global_store_b32 v1, v5, s[30:31]
	global_store_b32 v1, v4, s[4:5]
.LBB3_123:                              ;   in Loop: Header=BB3_97 Depth=2
	s_mov_b32 s29, s16
	s_mov_b32 s3, s26
	s_and_b32 vcc_lo, exec_lo, s38
	s_cbranch_vccz .LBB3_141
.LBB3_124:                              ;   in Loop: Header=BB3_97 Depth=2
	s_ashr_i32 s29, s28, 31
	s_delay_alu instid0(SALU_CYCLE_1) | instskip(NEXT) | instid1(SALU_CYCLE_1)
	s_lshl_b64 s[30:31], s[28:29], 2
	s_add_u32 s28, s10, s30
	s_addc_u32 s29, s11, s31
	s_add_u32 s30, s46, s30
	global_load_b32 v4, v1, s[28:29]
	s_addc_u32 s31, s47, s31
	global_load_b32 v5, v1, s[30:31]
	s_waitcnt vmcnt(1)
	v_mul_f32_e32 v6, 0x4f800000, v4
	v_cmp_gt_f32_e32 vcc_lo, 0xf800000, v4
	s_delay_alu instid0(VALU_DEP_2) | instskip(NEXT) | instid1(VALU_DEP_1)
	v_cndmask_b32_e32 v4, v4, v6, vcc_lo
	v_sqrt_f32_e32 v6, v4
	s_waitcnt_depctr 0xfff
	v_add_nc_u32_e32 v7, -1, v6
	v_add_nc_u32_e32 v8, 1, v6
	s_delay_alu instid0(VALU_DEP_2) | instskip(NEXT) | instid1(VALU_DEP_2)
	v_fma_f32 v9, -v7, v6, v4
	v_fma_f32 v10, -v8, v6, v4
	s_delay_alu instid0(VALU_DEP_2) | instskip(NEXT) | instid1(VALU_DEP_1)
	v_cmp_ge_f32_e64 s3, 0, v9
	v_cndmask_b32_e64 v6, v6, v7, s3
	s_delay_alu instid0(VALU_DEP_3) | instskip(NEXT) | instid1(VALU_DEP_1)
	v_cmp_lt_f32_e64 s3, 0, v10
	v_cndmask_b32_e64 v6, v6, v8, s3
	s_delay_alu instid0(VALU_DEP_1) | instskip(NEXT) | instid1(VALU_DEP_1)
	v_mul_f32_e32 v7, 0x37800000, v6
	v_cndmask_b32_e32 v6, v6, v7, vcc_lo
	v_cmp_class_f32_e64 vcc_lo, v4, 0x260
	s_waitcnt vmcnt(0)
	s_delay_alu instid0(VALU_DEP_2) | instskip(NEXT) | instid1(VALU_DEP_1)
	v_dual_sub_f32 v7, v3, v5 :: v_dual_cndmask_b32 v4, v6, v4
	v_add_f32_e32 v8, v4, v4
	s_delay_alu instid0(VALU_DEP_1) | instskip(SKIP_1) | instid1(VALU_DEP_2)
	v_cmp_ngt_f32_e64 s3, |v7|, |v8|
	v_and_b32_e32 v9, 0x7fffffff, v8
	s_and_b32 vcc_lo, exec_lo, s3
	s_cbranch_vccz .LBB3_127
; %bb.125:                              ;   in Loop: Header=BB3_97 Depth=2
	v_cmp_nlt_f32_e64 s3, |v7|, |v8|
	s_delay_alu instid0(VALU_DEP_1)
	s_and_b32 vcc_lo, exec_lo, s3
	s_cbranch_vccz .LBB3_128
; %bb.126:                              ;   in Loop: Header=BB3_97 Depth=2
	v_cvt_f64_f32_e32 v[10:11], v9
	s_delay_alu instid0(VALU_DEP_1) | instskip(NEXT) | instid1(VALU_DEP_1)
	v_mul_f64 v[10:11], v[10:11], s[12:13]
	v_cvt_f32_f64_e32 v6, v[10:11]
	s_cbranch_execz .LBB3_129
	s_branch .LBB3_130
.LBB3_127:                              ;   in Loop: Header=BB3_97 Depth=2
                                        ; implicit-def: $vgpr6
	s_branch .LBB3_131
.LBB3_128:                              ;   in Loop: Header=BB3_97 Depth=2
                                        ; implicit-def: $vgpr6
.LBB3_129:                              ;   in Loop: Header=BB3_97 Depth=2
	v_and_b32_e32 v6, 0x7fffffff, v7
	s_delay_alu instid0(VALU_DEP_1) | instskip(SKIP_1) | instid1(VALU_DEP_2)
	v_div_scale_f32 v10, null, v9, v9, v6
	v_div_scale_f32 v6, vcc_lo, v6, v9, v6
	v_rcp_f32_e32 v11, v10
	s_waitcnt_depctr 0xfff
	v_fma_f32 v12, -v10, v11, 1.0
	s_delay_alu instid0(VALU_DEP_1) | instskip(NEXT) | instid1(VALU_DEP_1)
	v_fmac_f32_e32 v11, v12, v11
	v_mul_f32_e32 v12, v6, v11
	s_delay_alu instid0(VALU_DEP_1) | instskip(NEXT) | instid1(VALU_DEP_1)
	v_fma_f32 v13, -v10, v12, v6
	v_fmac_f32_e32 v12, v13, v11
	s_delay_alu instid0(VALU_DEP_1) | instskip(NEXT) | instid1(VALU_DEP_1)
	v_fma_f32 v6, -v10, v12, v6
	v_div_fmas_f32 v6, v6, v11, v12
	s_delay_alu instid0(VALU_DEP_1) | instskip(NEXT) | instid1(VALU_DEP_1)
	v_div_fixup_f32 v6, v6, |v8|, |v7|
	v_fma_f32 v6, v6, v6, 1.0
	s_delay_alu instid0(VALU_DEP_1) | instskip(SKIP_1) | instid1(VALU_DEP_2)
	v_mul_f32_e32 v10, 0x4f800000, v6
	v_cmp_gt_f32_e32 vcc_lo, 0xf800000, v6
	v_cndmask_b32_e32 v6, v6, v10, vcc_lo
	s_delay_alu instid0(VALU_DEP_1) | instskip(SKIP_3) | instid1(VALU_DEP_2)
	v_sqrt_f32_e32 v10, v6
	s_waitcnt_depctr 0xfff
	v_add_nc_u32_e32 v11, -1, v10
	v_add_nc_u32_e32 v12, 1, v10
	v_fma_f32 v13, -v11, v10, v6
	s_delay_alu instid0(VALU_DEP_2) | instskip(NEXT) | instid1(VALU_DEP_2)
	v_fma_f32 v14, -v12, v10, v6
	v_cmp_ge_f32_e64 s3, 0, v13
	s_delay_alu instid0(VALU_DEP_1) | instskip(NEXT) | instid1(VALU_DEP_3)
	v_cndmask_b32_e64 v10, v10, v11, s3
	v_cmp_lt_f32_e64 s3, 0, v14
	s_delay_alu instid0(VALU_DEP_1) | instskip(NEXT) | instid1(VALU_DEP_1)
	v_cndmask_b32_e64 v10, v10, v12, s3
	v_mul_f32_e32 v11, 0x37800000, v10
	s_delay_alu instid0(VALU_DEP_1) | instskip(SKIP_1) | instid1(VALU_DEP_2)
	v_cndmask_b32_e32 v10, v10, v11, vcc_lo
	v_cmp_class_f32_e64 vcc_lo, v6, 0x260
	v_cndmask_b32_e32 v6, v10, v6, vcc_lo
	s_delay_alu instid0(VALU_DEP_1)
	v_mul_f32_e64 v6, |v8|, v6
.LBB3_130:                              ;   in Loop: Header=BB3_97 Depth=2
	s_cbranch_execnz .LBB3_132
.LBB3_131:                              ;   in Loop: Header=BB3_97 Depth=2
	v_and_b32_e32 v6, 0x7fffffff, v7
	s_delay_alu instid0(VALU_DEP_1) | instskip(SKIP_1) | instid1(VALU_DEP_2)
	v_div_scale_f32 v10, null, v6, v6, v9
	v_div_scale_f32 v6, vcc_lo, v9, v6, v9
	v_rcp_f32_e32 v11, v10
	s_waitcnt_depctr 0xfff
	v_fma_f32 v12, -v10, v11, 1.0
	s_delay_alu instid0(VALU_DEP_1) | instskip(NEXT) | instid1(VALU_DEP_1)
	v_fmac_f32_e32 v11, v12, v11
	v_mul_f32_e32 v9, v6, v11
	s_delay_alu instid0(VALU_DEP_1) | instskip(NEXT) | instid1(VALU_DEP_1)
	v_fma_f32 v12, -v10, v9, v6
	v_fmac_f32_e32 v9, v12, v11
	s_delay_alu instid0(VALU_DEP_1) | instskip(NEXT) | instid1(VALU_DEP_1)
	v_fma_f32 v6, -v10, v9, v6
	v_div_fmas_f32 v6, v6, v11, v9
	s_delay_alu instid0(VALU_DEP_1) | instskip(NEXT) | instid1(VALU_DEP_1)
	v_div_fixup_f32 v6, v6, |v7|, |v8|
	v_fma_f32 v6, v6, v6, 1.0
	s_delay_alu instid0(VALU_DEP_1) | instskip(SKIP_1) | instid1(VALU_DEP_2)
	v_mul_f32_e32 v8, 0x4f800000, v6
	v_cmp_gt_f32_e32 vcc_lo, 0xf800000, v6
	v_cndmask_b32_e32 v6, v6, v8, vcc_lo
	s_delay_alu instid0(VALU_DEP_1) | instskip(SKIP_3) | instid1(VALU_DEP_2)
	v_sqrt_f32_e32 v8, v6
	s_waitcnt_depctr 0xfff
	v_add_nc_u32_e32 v9, -1, v8
	v_add_nc_u32_e32 v10, 1, v8
	v_fma_f32 v11, -v9, v8, v6
	s_delay_alu instid0(VALU_DEP_2) | instskip(NEXT) | instid1(VALU_DEP_2)
	v_fma_f32 v12, -v10, v8, v6
	v_cmp_ge_f32_e64 s3, 0, v11
	s_delay_alu instid0(VALU_DEP_1) | instskip(NEXT) | instid1(VALU_DEP_3)
	v_cndmask_b32_e64 v8, v8, v9, s3
	v_cmp_lt_f32_e64 s3, 0, v12
	s_delay_alu instid0(VALU_DEP_1) | instskip(NEXT) | instid1(VALU_DEP_1)
	v_cndmask_b32_e64 v8, v8, v10, s3
	v_mul_f32_e32 v9, 0x37800000, v8
	s_delay_alu instid0(VALU_DEP_1) | instskip(SKIP_1) | instid1(VALU_DEP_2)
	v_cndmask_b32_e32 v8, v8, v9, vcc_lo
	v_cmp_class_f32_e64 vcc_lo, v6, 0x260
	v_cndmask_b32_e32 v6, v8, v6, vcc_lo
	s_delay_alu instid0(VALU_DEP_1)
	v_mul_f32_e64 v6, |v7|, v6
.LBB3_132:                              ;   in Loop: Header=BB3_97 Depth=2
	v_cmp_gt_f32_e64 vcc_lo, |v3|, |v5|
	v_add_f32_e32 v8, v3, v5
	v_cndmask_b32_e32 v7, v3, v5, vcc_lo
	v_cndmask_b32_e32 v5, v5, v3, vcc_lo
	s_delay_alu instid0(VALU_DEP_3) | instskip(NEXT) | instid1(VALU_DEP_1)
	v_cmp_ngt_f32_e64 s3, 0, v8
	s_and_b32 vcc_lo, exec_lo, s3
	s_cbranch_vccz .LBB3_135
; %bb.133:                              ;   in Loop: Header=BB3_97 Depth=2
	v_cmp_nlt_f32_e32 vcc_lo, 0, v8
	s_cbranch_vccz .LBB3_136
; %bb.134:                              ;   in Loop: Header=BB3_97 Depth=2
	v_mul_f32_e32 v3, 0.5, v6
	v_mul_f32_e32 v9, -0.5, v6
	s_cbranch_execz .LBB3_137
	s_branch .LBB3_138
.LBB3_135:                              ;   in Loop: Header=BB3_97 Depth=2
                                        ; implicit-def: $vgpr9
                                        ; implicit-def: $vgpr3
	s_branch .LBB3_139
.LBB3_136:                              ;   in Loop: Header=BB3_97 Depth=2
                                        ; implicit-def: $vgpr9
                                        ; implicit-def: $vgpr3
.LBB3_137:                              ;   in Loop: Header=BB3_97 Depth=2
	v_add_f32_e32 v3, v8, v6
	v_cvt_f64_f32_e32 v[9:10], v5
	v_cvt_f64_f32_e32 v[13:14], v4
	s_delay_alu instid0(VALU_DEP_3) | instskip(NEXT) | instid1(VALU_DEP_1)
	v_mul_f32_e32 v3, 0.5, v3
	v_cvt_f64_f32_e32 v[11:12], v3
	s_delay_alu instid0(VALU_DEP_1) | instskip(NEXT) | instid1(VALU_DEP_4)
	v_div_scale_f64 v[15:16], null, v[11:12], v[11:12], v[9:10]
	v_div_scale_f64 v[17:18], null, v[11:12], v[11:12], v[13:14]
	v_div_scale_f64 v[27:28], vcc_lo, v[9:10], v[11:12], v[9:10]
	s_delay_alu instid0(VALU_DEP_3) | instskip(NEXT) | instid1(VALU_DEP_2)
	v_rcp_f64_e32 v[19:20], v[15:16]
	v_rcp_f64_e32 v[21:22], v[17:18]
	s_waitcnt_depctr 0xfff
	v_fma_f64 v[23:24], -v[15:16], v[19:20], 1.0
	v_fma_f64 v[25:26], -v[17:18], v[21:22], 1.0
	s_delay_alu instid0(VALU_DEP_2) | instskip(NEXT) | instid1(VALU_DEP_2)
	v_fma_f64 v[19:20], v[19:20], v[23:24], v[19:20]
	v_fma_f64 v[21:22], v[21:22], v[25:26], v[21:22]
	s_delay_alu instid0(VALU_DEP_2) | instskip(NEXT) | instid1(VALU_DEP_2)
	v_fma_f64 v[23:24], -v[15:16], v[19:20], 1.0
	v_fma_f64 v[25:26], -v[17:18], v[21:22], 1.0
	s_delay_alu instid0(VALU_DEP_2) | instskip(SKIP_1) | instid1(VALU_DEP_3)
	v_fma_f64 v[19:20], v[19:20], v[23:24], v[19:20]
	v_div_scale_f64 v[23:24], s3, v[13:14], v[11:12], v[13:14]
	v_fma_f64 v[21:22], v[21:22], v[25:26], v[21:22]
	s_delay_alu instid0(VALU_DEP_3) | instskip(NEXT) | instid1(VALU_DEP_2)
	v_mul_f64 v[25:26], v[27:28], v[19:20]
	v_mul_f64 v[29:30], v[23:24], v[21:22]
	s_delay_alu instid0(VALU_DEP_2) | instskip(NEXT) | instid1(VALU_DEP_2)
	v_fma_f64 v[15:16], -v[15:16], v[25:26], v[27:28]
	v_fma_f64 v[17:18], -v[17:18], v[29:30], v[23:24]
	s_delay_alu instid0(VALU_DEP_2) | instskip(SKIP_1) | instid1(VALU_DEP_2)
	v_div_fmas_f64 v[15:16], v[15:16], v[19:20], v[25:26]
	s_mov_b32 vcc_lo, s3
	v_div_fmas_f64 v[17:18], v[17:18], v[21:22], v[29:30]
	s_delay_alu instid0(VALU_DEP_2) | instskip(NEXT) | instid1(VALU_DEP_2)
	v_div_fixup_f64 v[9:10], v[15:16], v[11:12], v[9:10]
	v_div_fixup_f64 v[17:18], v[17:18], v[11:12], v[13:14]
	v_cvt_f64_f32_e32 v[11:12], v7
	s_delay_alu instid0(VALU_DEP_2) | instskip(NEXT) | instid1(VALU_DEP_1)
	v_mul_f64 v[13:14], v[17:18], v[13:14]
	v_fma_f64 v[9:10], v[9:10], v[11:12], -v[13:14]
	s_delay_alu instid0(VALU_DEP_1)
	v_cvt_f32_f64_e32 v9, v[9:10]
.LBB3_138:                              ;   in Loop: Header=BB3_97 Depth=2
	s_cbranch_execnz .LBB3_140
.LBB3_139:                              ;   in Loop: Header=BB3_97 Depth=2
	v_sub_f32_e32 v3, v8, v6
	v_cvt_f64_f32_e32 v[5:6], v5
	v_cvt_f64_f32_e32 v[10:11], v4
	s_delay_alu instid0(VALU_DEP_3) | instskip(NEXT) | instid1(VALU_DEP_1)
	v_mul_f32_e32 v3, 0.5, v3
	v_cvt_f64_f32_e32 v[8:9], v3
	s_delay_alu instid0(VALU_DEP_1) | instskip(NEXT) | instid1(VALU_DEP_4)
	v_div_scale_f64 v[12:13], null, v[8:9], v[8:9], v[5:6]
	v_div_scale_f64 v[14:15], null, v[8:9], v[8:9], v[10:11]
	v_div_scale_f64 v[24:25], vcc_lo, v[5:6], v[8:9], v[5:6]
	s_delay_alu instid0(VALU_DEP_3) | instskip(NEXT) | instid1(VALU_DEP_2)
	v_rcp_f64_e32 v[16:17], v[12:13]
	v_rcp_f64_e32 v[18:19], v[14:15]
	s_waitcnt_depctr 0xfff
	v_fma_f64 v[20:21], -v[12:13], v[16:17], 1.0
	v_fma_f64 v[22:23], -v[14:15], v[18:19], 1.0
	s_delay_alu instid0(VALU_DEP_2) | instskip(NEXT) | instid1(VALU_DEP_2)
	v_fma_f64 v[16:17], v[16:17], v[20:21], v[16:17]
	v_fma_f64 v[18:19], v[18:19], v[22:23], v[18:19]
	s_delay_alu instid0(VALU_DEP_2) | instskip(NEXT) | instid1(VALU_DEP_2)
	v_fma_f64 v[20:21], -v[12:13], v[16:17], 1.0
	v_fma_f64 v[22:23], -v[14:15], v[18:19], 1.0
	s_delay_alu instid0(VALU_DEP_2) | instskip(SKIP_1) | instid1(VALU_DEP_3)
	v_fma_f64 v[16:17], v[16:17], v[20:21], v[16:17]
	v_div_scale_f64 v[20:21], s3, v[10:11], v[8:9], v[10:11]
	v_fma_f64 v[18:19], v[18:19], v[22:23], v[18:19]
	s_delay_alu instid0(VALU_DEP_3) | instskip(NEXT) | instid1(VALU_DEP_2)
	v_mul_f64 v[22:23], v[24:25], v[16:17]
	v_mul_f64 v[26:27], v[20:21], v[18:19]
	s_delay_alu instid0(VALU_DEP_2) | instskip(NEXT) | instid1(VALU_DEP_2)
	v_fma_f64 v[12:13], -v[12:13], v[22:23], v[24:25]
	v_fma_f64 v[14:15], -v[14:15], v[26:27], v[20:21]
	s_delay_alu instid0(VALU_DEP_2) | instskip(SKIP_1) | instid1(VALU_DEP_2)
	v_div_fmas_f64 v[12:13], v[12:13], v[16:17], v[22:23]
	s_mov_b32 vcc_lo, s3
	v_div_fmas_f64 v[14:15], v[14:15], v[18:19], v[26:27]
	s_delay_alu instid0(VALU_DEP_2) | instskip(SKIP_1) | instid1(VALU_DEP_3)
	v_div_fixup_f64 v[4:5], v[12:13], v[8:9], v[5:6]
	v_cvt_f64_f32_e32 v[6:7], v7
	v_div_fixup_f64 v[14:15], v[14:15], v[8:9], v[10:11]
	s_delay_alu instid0(VALU_DEP_1) | instskip(NEXT) | instid1(VALU_DEP_1)
	v_mul_f64 v[8:9], v[14:15], v[10:11]
	v_fma_f64 v[4:5], v[4:5], v[6:7], -v[8:9]
	s_delay_alu instid0(VALU_DEP_1)
	v_cvt_f32_f64_e32 v9, v[4:5]
.LBB3_140:                              ;   in Loop: Header=BB3_97 Depth=2
	s_add_i32 s3, s26, -2
	s_mov_b32 s34, -1
	s_mov_b32 s35, s64
	s_clause 0x2
	global_store_b32 v1, v3, s[4:5]
	global_store_b32 v1, v9, s[30:31]
	;; [unrolled: 1-line block ×3, first 2 shown]
                                        ; implicit-def: $sgpr29
.LBB3_141:                              ;   in Loop: Header=BB3_97 Depth=2
	s_mov_b32 s64, s35
	s_and_b32 vcc_lo, exec_lo, s34
	s_cbranch_vccz .LBB3_96
.LBB3_142:                              ;   in Loop: Header=BB3_97 Depth=2
	s_cmp_lt_i32 s3, s66
	s_mov_b32 s29, s64
	s_cselect_b32 s4, -1, 0
	s_cmp_ge_i32 s64, s16
	s_cselect_b32 s5, -1, 0
	s_delay_alu instid0(SALU_CYCLE_1)
	s_or_b32 s27, s4, s5
	s_branch .LBB3_96
.LBB3_143:                              ;   in Loop: Header=BB3_4 Depth=1
	s_mov_b32 s64, s29
.LBB3_144:                              ;   in Loop: Header=BB3_4 Depth=1
	s_delay_alu instid0(SALU_CYCLE_1)
	s_mov_b32 s35, s64
	v_cmp_lt_f32_e32 vcc_lo, s19, v2
	s_and_not1_b32 vcc_lo, exec_lo, vcc_lo
	s_cbranch_vccnz .LBB3_148
.LBB3_145:                              ;   in Loop: Header=BB3_4 Depth=1
	global_load_b32 v4, v1, s[24:25]
	s_waitcnt vmcnt(1)
	v_div_scale_f32 v3, null, v2, v2, s19
	s_delay_alu instid0(VALU_DEP_1) | instskip(SKIP_2) | instid1(VALU_DEP_1)
	v_rcp_f32_e32 v5, v3
	s_waitcnt_depctr 0xfff
	v_fma_f32 v6, -v3, v5, 1.0
	v_fmac_f32_e32 v5, v6, v5
	v_div_scale_f32 v6, vcc_lo, s19, v2, s19
	s_delay_alu instid0(VALU_DEP_1) | instskip(NEXT) | instid1(VALU_DEP_1)
	v_mul_f32_e32 v7, v6, v5
	v_fma_f32 v8, -v3, v7, v6
	s_delay_alu instid0(VALU_DEP_1) | instskip(NEXT) | instid1(VALU_DEP_1)
	v_fmac_f32_e32 v7, v8, v5
	v_fma_f32 v3, -v3, v7, v6
	s_delay_alu instid0(VALU_DEP_1) | instskip(SKIP_1) | instid1(VALU_DEP_1)
	v_div_fmas_f32 v3, v3, v5, v7
	s_and_b32 vcc_lo, exec_lo, s2
	v_div_fixup_f32 v3, v3, v2, s19
	s_waitcnt vmcnt(0)
	s_delay_alu instid0(VALU_DEP_1)
	v_mul_f32_e32 v4, v3, v4
	global_store_b32 v1, v4, s[24:25]
	s_cbranch_vccnz .LBB3_148
; %bb.146:                              ;   in Loop: Header=BB3_4 Depth=1
	s_add_u32 s4, s57, s22
	s_addc_u32 s5, s58, s23
	s_add_u32 s26, s53, s22
	s_addc_u32 s27, s54, s23
	s_mov_b32 s3, s65
	.p2align	6
.LBB3_147:                              ;   Parent Loop BB3_4 Depth=1
                                        ; =>  This Inner Loop Header: Depth=2
	global_load_b32 v4, v1, s[4:5]
	s_add_i32 s3, s3, 1
	s_waitcnt vmcnt(0)
	v_mul_f32_e32 v4, v3, v4
	global_store_b32 v1, v4, s[4:5]
	global_load_b32 v4, v1, s[26:27]
	s_add_u32 s4, s4, 4
	s_addc_u32 s5, s5, 0
	s_waitcnt vmcnt(0)
	v_mul_f32_e32 v4, v3, v4
	global_store_b32 v1, v4, s[26:27]
	s_add_u32 s26, s26, 4
	s_addc_u32 s27, s27, 0
	s_cmp_lt_i32 s3, s14
	s_cbranch_scc1 .LBB3_147
.LBB3_148:                              ;   in Loop: Header=BB3_4 Depth=1
	v_cmp_ngt_f32_e32 vcc_lo, s18, v2
	s_cbranch_vccnz .LBB3_2
; %bb.149:                              ;   in Loop: Header=BB3_4 Depth=1
	global_load_b32 v3, v1, s[24:25]
	v_div_scale_f32 v4, null, v2, v2, s18
	s_delay_alu instid0(VALU_DEP_1) | instskip(SKIP_2) | instid1(VALU_DEP_1)
	v_rcp_f32_e32 v5, v4
	s_waitcnt_depctr 0xfff
	v_fma_f32 v6, -v4, v5, 1.0
	v_fmac_f32_e32 v5, v6, v5
	v_div_scale_f32 v6, vcc_lo, s18, v2, s18
	s_delay_alu instid0(VALU_DEP_1) | instskip(NEXT) | instid1(VALU_DEP_1)
	v_mul_f32_e32 v7, v6, v5
	v_fma_f32 v8, -v4, v7, v6
	s_delay_alu instid0(VALU_DEP_1) | instskip(NEXT) | instid1(VALU_DEP_1)
	v_fmac_f32_e32 v7, v8, v5
	v_fma_f32 v4, -v4, v7, v6
	s_delay_alu instid0(VALU_DEP_1) | instskip(SKIP_1) | instid1(VALU_DEP_1)
	v_div_fmas_f32 v4, v4, v5, v7
	s_and_b32 vcc_lo, exec_lo, s2
	v_div_fixup_f32 v2, v4, v2, s18
	s_waitcnt vmcnt(0)
	s_delay_alu instid0(VALU_DEP_1)
	v_mul_f32_e32 v3, v2, v3
	global_store_b32 v1, v3, s[24:25]
	s_cbranch_vccnz .LBB3_2
; %bb.150:                              ;   in Loop: Header=BB3_4 Depth=1
	s_add_u32 s2, s57, s22
	s_addc_u32 s3, s58, s23
	s_add_u32 s4, s53, s22
	s_addc_u32 s5, s54, s23
	.p2align	6
.LBB3_151:                              ;   Parent Loop BB3_4 Depth=1
                                        ; =>  This Inner Loop Header: Depth=2
	global_load_b32 v3, v1, s[2:3]
	s_add_i32 s65, s65, 1
	s_waitcnt vmcnt(0)
	v_mul_f32_e32 v3, v2, v3
	global_store_b32 v1, v3, s[2:3]
	global_load_b32 v3, v1, s[4:5]
	s_add_u32 s2, s2, 4
	s_addc_u32 s3, s3, 0
	s_waitcnt vmcnt(0)
	v_mul_f32_e32 v3, v2, v3
	global_store_b32 v1, v3, s[4:5]
	s_add_u32 s4, s4, 4
	s_addc_u32 s5, s5, 0
	s_cmp_lt_i32 s65, s14
	s_cbranch_scc1 .LBB3_151
	s_branch .LBB3_2
.LBB3_152:
	s_cmp_lt_i32 s33, 2
	s_cbranch_scc1 .LBB3_163
; %bb.153:
	s_load_b64 s[0:1], s[0:1], 0x28
	s_lshl_b64 s[2:3], s[20:21], 2
	v_mov_b32_e32 v0, 0
	s_waitcnt lgkmcnt(0)
	s_add_u32 s0, s0, s2
	s_addc_u32 s1, s1, s3
	s_mov_b32 s2, 1
	s_branch .LBB3_155
.LBB3_154:                              ;   in Loop: Header=BB3_155 Depth=1
	s_add_i32 s2, s2, 1
	s_add_u32 s10, s10, 4
	s_addc_u32 s11, s11, 0
	s_cmp_lg_u32 s33, s2
	s_cbranch_scc0 .LBB3_157
.LBB3_155:                              ; =>This Inner Loop Header: Depth=1
	global_load_b32 v1, v0, s[10:11]
	s_waitcnt vmcnt(0)
	v_cmp_eq_f32_e32 vcc_lo, 0, v1
	s_cbranch_vccnz .LBB3_154
; %bb.156:                              ;   in Loop: Header=BB3_155 Depth=1
	global_load_b32 v1, v0, s[0:1]
	s_waitcnt vmcnt(0)
	v_add_nc_u32_e32 v1, 1, v1
	global_store_b32 v0, v1, s[0:1]
	s_branch .LBB3_154
.LBB3_157:
	s_add_u32 s10, s46, -4
	s_addc_u32 s11, s47, -1
	s_add_u32 s0, s6, s8
	v_mov_b32_e32 v0, 0
	s_addc_u32 s1, s7, s9
	s_add_u32 s0, s0, 4
	s_addc_u32 s1, s1, 0
	s_mov_b32 s2, 1
	s_set_inst_prefetch_distance 0x1
	s_branch .LBB3_159
	.p2align	6
.LBB3_158:                              ;   in Loop: Header=BB3_159 Depth=1
	s_add_i32 s2, s2, 1
	s_add_u32 s0, s0, 4
	s_addc_u32 s1, s1, 0
	s_cmp_lg_u32 s2, s33
	s_cbranch_scc0 .LBB3_163
.LBB3_159:                              ; =>This Loop Header: Depth=1
                                        ;     Child Loop BB3_160 Depth 2
	s_ashr_i32 s3, s2, 31
	s_mov_b64 s[8:9], s[0:1]
	s_lshl_b64 s[4:5], s[2:3], 2
	s_add_i32 s3, s2, -1
	s_add_u32 s4, s10, s4
	s_addc_u32 s5, s11, s5
	s_mov_b32 s7, s2
	global_load_b32 v1, v0, s[4:5]
	s_mov_b32 s6, s3
	s_waitcnt vmcnt(0)
	v_mov_b32_e32 v2, v1
.LBB3_160:                              ;   Parent Loop BB3_159 Depth=1
                                        ; =>  This Inner Loop Header: Depth=2
	global_load_b32 v3, v0, s[8:9]
	s_waitcnt vmcnt(0)
	v_cmp_lt_f32_e32 vcc_lo, v3, v2
	s_and_b32 s12, vcc_lo, exec_lo
	v_cndmask_b32_e32 v2, v2, v3, vcc_lo
	s_cselect_b32 s6, s7, s6
	s_add_i32 s7, s7, 1
	s_add_u32 s8, s8, 4
	s_addc_u32 s9, s9, 0
	s_cmp_ge_i32 s7, s33
	s_cbranch_scc0 .LBB3_160
; %bb.161:                              ;   in Loop: Header=BB3_159 Depth=1
	s_cmp_lg_u32 s6, s3
	s_cbranch_scc0 .LBB3_158
; %bb.162:                              ;   in Loop: Header=BB3_159 Depth=1
	s_ashr_i32 s7, s6, 31
	s_delay_alu instid0(SALU_CYCLE_1) | instskip(NEXT) | instid1(SALU_CYCLE_1)
	s_lshl_b64 s[6:7], s[6:7], 2
	s_add_u32 s6, s46, s6
	s_addc_u32 s7, s47, s7
	s_clause 0x1
	global_store_b32 v0, v1, s[6:7]
	global_store_b32 v0, v2, s[4:5]
	s_branch .LBB3_158
.LBB3_163:
	s_set_inst_prefetch_distance 0x2
	s_nop 0
	s_sendmsg sendmsg(MSG_DEALLOC_VGPRS)
	s_endpgm
	.section	.rodata,"a",@progbits
	.p2align	6, 0x0
	.amdhsa_kernel _ZN9rocsolver6v33100L12sterf_kernelIfEEviPT_lS3_lPiS4_iS2_S2_S2_
		.amdhsa_group_segment_fixed_size 0
		.amdhsa_private_segment_fixed_size 0
		.amdhsa_kernarg_size 72
		.amdhsa_user_sgpr_count 15
		.amdhsa_user_sgpr_dispatch_ptr 0
		.amdhsa_user_sgpr_queue_ptr 0
		.amdhsa_user_sgpr_kernarg_segment_ptr 1
		.amdhsa_user_sgpr_dispatch_id 0
		.amdhsa_user_sgpr_private_segment_size 0
		.amdhsa_wavefront_size32 1
		.amdhsa_uses_dynamic_stack 0
		.amdhsa_enable_private_segment 0
		.amdhsa_system_sgpr_workgroup_id_x 1
		.amdhsa_system_sgpr_workgroup_id_y 0
		.amdhsa_system_sgpr_workgroup_id_z 0
		.amdhsa_system_sgpr_workgroup_info 0
		.amdhsa_system_vgpr_workitem_id 0
		.amdhsa_next_free_vgpr 31
		.amdhsa_next_free_sgpr 68
		.amdhsa_reserve_vcc 1
		.amdhsa_float_round_mode_32 0
		.amdhsa_float_round_mode_16_64 0
		.amdhsa_float_denorm_mode_32 3
		.amdhsa_float_denorm_mode_16_64 3
		.amdhsa_dx10_clamp 1
		.amdhsa_ieee_mode 1
		.amdhsa_fp16_overflow 0
		.amdhsa_workgroup_processor_mode 1
		.amdhsa_memory_ordered 1
		.amdhsa_forward_progress 0
		.amdhsa_shared_vgpr_count 0
		.amdhsa_exception_fp_ieee_invalid_op 0
		.amdhsa_exception_fp_denorm_src 0
		.amdhsa_exception_fp_ieee_div_zero 0
		.amdhsa_exception_fp_ieee_overflow 0
		.amdhsa_exception_fp_ieee_underflow 0
		.amdhsa_exception_fp_ieee_inexact 0
		.amdhsa_exception_int_div_zero 0
	.end_amdhsa_kernel
	.section	.text._ZN9rocsolver6v33100L12sterf_kernelIfEEviPT_lS3_lPiS4_iS2_S2_S2_,"axG",@progbits,_ZN9rocsolver6v33100L12sterf_kernelIfEEviPT_lS3_lPiS4_iS2_S2_S2_,comdat
.Lfunc_end3:
	.size	_ZN9rocsolver6v33100L12sterf_kernelIfEEviPT_lS3_lPiS4_iS2_S2_S2_, .Lfunc_end3-_ZN9rocsolver6v33100L12sterf_kernelIfEEviPT_lS3_lPiS4_iS2_S2_S2_
                                        ; -- End function
	.section	.AMDGPU.csdata,"",@progbits
; Kernel info:
; codeLenInByte = 9260
; NumSgprs: 70
; NumVgprs: 31
; ScratchSize: 0
; MemoryBound: 0
; FloatMode: 240
; IeeeMode: 1
; LDSByteSize: 0 bytes/workgroup (compile time only)
; SGPRBlocks: 8
; VGPRBlocks: 3
; NumSGPRsForWavesPerEU: 70
; NumVGPRsForWavesPerEU: 31
; Occupancy: 16
; WaveLimiterHint : 0
; COMPUTE_PGM_RSRC2:SCRATCH_EN: 0
; COMPUTE_PGM_RSRC2:USER_SGPR: 15
; COMPUTE_PGM_RSRC2:TRAP_HANDLER: 0
; COMPUTE_PGM_RSRC2:TGID_X_EN: 1
; COMPUTE_PGM_RSRC2:TGID_Y_EN: 0
; COMPUTE_PGM_RSRC2:TGID_Z_EN: 0
; COMPUTE_PGM_RSRC2:TIDIG_COMP_CNT: 0
	.section	.text._ZN9rocsolver6v33100L11lasr_kernelIffPfiEEv13rocblas_side_14rocblas_pivot_15rocblas_direct_T2_S6_PT0_lS8_lT1_lS6_lS6_,"axG",@progbits,_ZN9rocsolver6v33100L11lasr_kernelIffPfiEEv13rocblas_side_14rocblas_pivot_15rocblas_direct_T2_S6_PT0_lS8_lT1_lS6_lS6_,comdat
	.globl	_ZN9rocsolver6v33100L11lasr_kernelIffPfiEEv13rocblas_side_14rocblas_pivot_15rocblas_direct_T2_S6_PT0_lS8_lT1_lS6_lS6_ ; -- Begin function _ZN9rocsolver6v33100L11lasr_kernelIffPfiEEv13rocblas_side_14rocblas_pivot_15rocblas_direct_T2_S6_PT0_lS8_lT1_lS6_lS6_
	.p2align	8
	.type	_ZN9rocsolver6v33100L11lasr_kernelIffPfiEEv13rocblas_side_14rocblas_pivot_15rocblas_direct_T2_S6_PT0_lS8_lT1_lS6_lS6_,@function
_ZN9rocsolver6v33100L11lasr_kernelIffPfiEEv13rocblas_side_14rocblas_pivot_15rocblas_direct_T2_S6_PT0_lS8_lT1_lS6_lS6_: ; @_ZN9rocsolver6v33100L11lasr_kernelIffPfiEEv13rocblas_side_14rocblas_pivot_15rocblas_direct_T2_S6_PT0_lS8_lT1_lS6_lS6_
; %bb.0:
	s_load_b32 s33, s[0:1], 0x58
	s_waitcnt lgkmcnt(0)
	s_cmp_ge_u32 s15, s33
	s_cbranch_scc1 .LBB4_98
; %bb.1:
	s_clause 0x5
	s_load_b32 s12, s[0:1], 0x48
	s_load_b128 s[20:23], s[0:1], 0x38
	s_load_b64 s[24:25], s[0:1], 0x68
	s_load_b128 s[16:19], s[0:1], 0x0
	s_load_b32 s52, s[0:1], 0x10
	s_load_b32 s28, s[0:1], 0x60
	s_mov_b32 s43, 0
	v_mov_b32_e32 v32, 0
	s_mov_b32 s45, s43
	s_waitcnt lgkmcnt(0)
	s_ashr_i32 s13, s12, 31
	s_lshl_b64 s[2:3], s[22:23], 2
	s_and_b32 s26, s25, 0xffff
	s_add_u32 s25, s20, s2
	s_addc_u32 s53, s21, s3
	s_cmpk_lg_i32 s16, 0x8d
	v_mad_u64_u32 v[1:2], null, s14, s26, v[0:1]
	s_cselect_b32 s27, -1, 0
	s_cmpk_lg_i32 s16, 0x8e
	s_mov_b32 s22, s19
	s_cselect_b32 s30, -1, 0
	s_cmpk_lg_i32 s17, 0x119
	s_cselect_b32 s29, -1, 0
	s_cmpk_lg_i32 s17, 0x11b
	v_mad_i64_i32 v[2:3], null, s12, v1, 0
	s_cselect_b32 s31, -1, 0
	s_cmpk_lg_i32 s17, 0x11a
	s_load_b64 s[16:17], s[0:1], 0x50
	s_cselect_b32 s34, -1, 0
	s_cmpk_lg_i32 s18, 0xab
	s_mul_i32 s26, s28, s26
	s_cselect_b32 s35, -1, 0
	s_or_b32 s36, s27, s29
	s_ashr_i32 s23, s19, 31
	s_or_b32 s4, s36, s35
	s_add_i32 s42, s19, -2
	s_xor_b32 s14, s4, -1
	s_cmpk_lg_i32 s18, 0xac
	s_load_b256 s[4:11], s[0:1], 0x18
	s_cselect_b32 s37, -1, 0
	v_lshlrev_b64 v[2:3], 2, v[2:3]
	s_or_b32 s0, s36, s37
	v_cmp_le_i32_e32 vcc_lo, s19, v1
	s_xor_b32 s18, s0, -1
	s_cmp_gt_i32 s19, 1
	v_cmp_gt_i32_e64 s0, s52, v1
	s_cselect_b32 s54, -1, 0
	s_or_b32 s1, s27, s34
	s_or_b32 s27, s27, s31
	;; [unrolled: 1-line block ×9, first 2 shown]
	s_xor_b32 s55, s29, -1
	s_xor_b32 s56, s1, -1
	s_xor_b32 s57, s36, -1
	s_xor_b32 s58, s27, -1
	s_xor_b32 s59, s38, -1
	s_add_i32 s60, s52, -1
	s_xor_b32 s61, s28, -1
	s_add_i32 s44, s52, -2
	s_cmp_gt_i32 s52, 1
	s_mul_i32 s36, s12, s26
	s_cselect_b32 s62, -1, 0
	s_or_b32 s27, s30, s34
	s_lshl_b64 s[38:39], s[42:43], 2
	s_or_b32 s34, s27, s35
	s_or_b32 s27, s27, s37
	s_xor_b32 s63, s34, -1
	s_xor_b32 s64, s27, -1
	s_or_b32 s27, s30, s31
	s_or_b32 s30, s37, vcc_lo
	v_add_co_u32 v4, vcc_lo, v2, s2
	v_add_co_ci_u32_e32 v3, vcc_lo, s3, v3, vcc_lo
	s_or_b32 s31, s27, s35
	s_or_b32 s27, s27, s30
	s_mul_hi_i32 s37, s12, s26
	v_add_co_u32 v0, vcc_lo, s20, v4
	s_xor_b32 s65, s31, -1
	s_xor_b32 s66, s27, -1
	s_add_i32 s30, s19, -1
	s_waitcnt lgkmcnt(0)
	s_lshl_b64 s[34:35], s[16:17], 2
	s_ashr_i32 s27, s26, 31
	s_lshl_b64 s[36:37], s[36:37], 2
	s_lshl_b64 s[6:7], s[6:7], 2
	;; [unrolled: 1-line block ×3, first 2 shown]
	v_add_co_ci_u32_e32 v15, vcc_lo, s21, v3, vcc_lo
	s_add_u32 s67, s4, s38
	s_addc_u32 s68, s5, s39
	s_add_u32 s69, s8, s38
	v_add_co_u32 v16, vcc_lo, v0, 4
	s_addc_u32 s70, s9, s39
	s_add_u32 s31, s20, s38
	v_add_co_ci_u32_e32 v17, vcc_lo, 0, v15, vcc_lo
	s_addc_u32 s38, s21, s39
	v_add_co_u32 v18, vcc_lo, s31, v4
	v_add_co_ci_u32_e32 v19, vcc_lo, s38, v3, vcc_lo
	s_mov_b32 s31, s43
	s_mul_i32 s28, s12, s60
	s_lshl_b64 s[38:39], s[30:31], 2
	v_add_co_u32 v20, vcc_lo, v18, 4
	s_add_i32 s31, s19, 1
	s_mul_i32 s40, s13, s60
	s_mul_hi_u32 s41, s12, s60
	s_add_u32 s38, s20, s38
	v_add_co_ci_u32_e32 v21, vcc_lo, 0, v19, vcc_lo
	s_addc_u32 s39, s21, s39
	s_add_i32 s41, s41, s40
	s_mov_b32 s40, s28
	v_add_co_u32 v22, vcc_lo, s38, v4
	s_lshl_b64 s[46:47], s[40:41], 2
	v_add_co_ci_u32_e32 v23, vcc_lo, s39, v3, vcc_lo
	s_lshl_b64 s[38:39], s[12:13], 2
	s_lshl_b64 s[40:41], s[26:27], 2
	s_add_u32 s27, s46, s2
	v_ashrrev_i32_e32 v2, 31, v1
	s_addc_u32 s42, s47, s3
	s_add_u32 s46, s20, s27
	s_addc_u32 s47, s21, s42
	s_lshl_b64 s[42:43], s[44:45], 2
	v_lshlrev_b64 v[2:3], 2, v[1:2]
	s_add_u32 s27, s4, s42
	s_addc_u32 s71, s5, s43
	s_add_u32 s72, s8, s42
	s_mul_i32 s42, s13, s44
	s_mul_hi_u32 s45, s12, s44
	s_addc_u32 s13, s9, s43
	s_add_i32 s43, s45, s42
	s_mul_i32 s42, s12, s44
	v_add_co_u32 v24, vcc_lo, s25, v2
	s_lshl_b64 s[42:43], s[42:43], 2
	v_add_co_ci_u32_e32 v25, vcc_lo, s53, v3, vcc_lo
	s_add_u32 s42, s42, s2
	s_addc_u32 s43, s43, s3
	v_add_co_u32 v26, vcc_lo, s46, v2
	s_add_u32 s42, s20, s42
	s_addc_u32 s43, s21, s43
	v_add_co_ci_u32_e32 v27, vcc_lo, s47, v3, vcc_lo
	s_add_u32 s2, s2, s38
	v_add_co_u32 v28, vcc_lo, s42, v2
	s_addc_u32 s3, s3, s39
	s_add_u32 s2, s20, s2
	v_add_co_ci_u32_e32 v29, vcc_lo, s43, v3, vcc_lo
	s_addc_u32 s3, s21, s3
	v_add_co_u32 v30, vcc_lo, s2, v2
	v_cmp_gt_i32_e64 s1, s19, v1
	v_add_co_ci_u32_e32 v31, vcc_lo, s3, v3, vcc_lo
	s_add_i32 s73, s52, 1
	s_sub_u32 s74, 0, s38
	s_mul_hi_i32 s29, s12, s60
	s_subb_u32 s75, 0, s39
	s_branch .LBB4_4
.LBB4_2:                                ;   in Loop: Header=BB4_4 Depth=1
	s_or_b32 exec_lo, exec_lo, s42
.LBB4_3:                                ;   in Loop: Header=BB4_4 Depth=1
	s_add_i32 s15, s15, s24
	s_delay_alu instid0(SALU_CYCLE_1)
	s_cmp_ge_u32 s15, s33
	s_cbranch_scc1 .LBB4_98
.LBB4_4:                                ; =>This Loop Header: Depth=1
                                        ;     Child Loop BB4_8 Depth 2
                                        ;       Child Loop BB4_9 Depth 3
                                        ;     Child Loop BB4_16 Depth 2
                                        ;       Child Loop BB4_17 Depth 3
	;; [unrolled: 2-line block ×12, first 2 shown]
	s_mul_i32 s2, s7, s15
	s_mul_hi_u32 s3, s6, s15
	s_mul_i32 s80, s6, s15
	s_add_i32 s51, s3, s2
	s_mul_i32 s2, s11, s15
	s_mul_hi_u32 s3, s10, s15
	s_mul_i32 s81, s10, s15
	s_add_i32 s50, s3, s2
	;; [unrolled: 4-line block ×3, first 2 shown]
	s_add_u32 s20, s4, s80
	s_addc_u32 s21, s5, s51
	s_mul_i32 s2, s15, s17
	s_mul_hi_u32 s3, s15, s16
	s_add_u32 s42, s8, s81
	s_addc_u32 s43, s9, s50
	s_add_i32 s3, s3, s2
	s_mul_i32 s2, s15, s16
	v_add_co_u32 v2, vcc_lo, v16, s79
	s_lshl_b64 s[2:3], s[2:3], 2
	v_add_co_ci_u32_e32 v3, vcc_lo, s78, v17, vcc_lo
	s_add_u32 s76, s25, s2
	s_addc_u32 s77, s53, s3
	s_and_not1_b32 vcc_lo, exec_lo, s14
	s_mov_b32 s2, -1
	s_cbranch_vccnz .LBB4_11
; %bb.5:                                ;   in Loop: Header=BB4_4 Depth=1
	s_and_saveexec_b32 s46, s0
	s_cbranch_execz .LBB4_10
; %bb.6:                                ;   in Loop: Header=BB4_4 Depth=1
	s_lshl_b64 s[2:3], s[22:23], 2
	v_dual_mov_b32 v5, v3 :: v_dual_mov_b32 v4, v2
	s_add_u32 s2, s76, s2
	v_mov_b32_e32 v10, v1
	s_addc_u32 s3, s77, s3
	s_add_u32 s47, s2, -4
	s_addc_u32 s48, s3, -1
	s_mov_b32 s49, 0
	s_branch .LBB4_8
.LBB4_7:                                ;   in Loop: Header=BB4_8 Depth=2
	v_add_nc_u32_e32 v10, s26, v10
	v_add_co_u32 v6, vcc_lo, s47, v6
	v_add_co_ci_u32_e32 v7, vcc_lo, s48, v7, vcc_lo
	s_delay_alu instid0(VALU_DEP_3) | instskip(SKIP_1) | instid1(VALU_DEP_1)
	v_cmp_le_i32_e32 vcc_lo, s52, v10
	v_add_co_u32 v4, s2, v4, s36
	v_add_co_ci_u32_e64 v5, s2, s37, v5, s2
	s_or_b32 s49, vcc_lo, s49
	s_waitcnt vmcnt(0)
	global_store_b32 v[6:7], v11, off
	s_and_not1_b32 exec_lo, exec_lo, s49
	s_cbranch_execz .LBB4_10
.LBB4_8:                                ;   Parent Loop BB4_4 Depth=1
                                        ; =>  This Loop Header: Depth=2
                                        ;       Child Loop BB4_9 Depth 3
	v_mad_i64_i32 v[6:7], null, v10, s12, 0
	s_mov_b64 s[2:3], s[42:43]
	s_mov_b64 s[44:45], s[20:21]
	s_mov_b32 s82, s30
	s_delay_alu instid0(VALU_DEP_1) | instskip(NEXT) | instid1(VALU_DEP_1)
	v_lshlrev_b64 v[6:7], 2, v[6:7]
	v_add_co_u32 v8, vcc_lo, s76, v6
	s_delay_alu instid0(VALU_DEP_2)
	v_add_co_ci_u32_e32 v9, vcc_lo, s77, v7, vcc_lo
	s_and_not1_b32 vcc_lo, exec_lo, s54
	global_load_b32 v11, v[8:9], off
	v_dual_mov_b32 v9, v5 :: v_dual_mov_b32 v8, v4
	s_cbranch_vccnz .LBB4_7
	.p2align	6
.LBB4_9:                                ;   Parent Loop BB4_4 Depth=1
                                        ;     Parent Loop BB4_8 Depth=2
                                        ; =>    This Inner Loop Header: Depth=3
	global_load_b32 v12, v32, s[2:3]
	global_load_b32 v13, v[8:9], off
	global_load_b32 v14, v32, s[44:45]
	s_add_i32 s82, s82, -1
	s_add_u32 s44, s44, 4
	s_addc_u32 s45, s45, 0
	s_add_u32 s2, s2, 4
	s_addc_u32 s3, s3, 0
	s_cmp_eq_u32 s82, 0
	s_waitcnt vmcnt(1)
	v_dual_mul_f32 v33, v12, v13 :: v_dual_mul_f32 v12, v11, v12
	s_waitcnt vmcnt(0)
	s_delay_alu instid0(VALU_DEP_1) | instskip(NEXT) | instid1(VALU_DEP_2)
	v_fmac_f32_e32 v33, v11, v14
	v_fma_f32 v11, v14, v13, -v12
	global_store_b32 v[8:9], v33, off offset:-4
	v_add_co_u32 v8, vcc_lo, v8, 4
	v_add_co_ci_u32_e32 v9, vcc_lo, 0, v9, vcc_lo
	s_cbranch_scc0 .LBB4_9
	s_branch .LBB4_7
.LBB4_10:                               ;   in Loop: Header=BB4_4 Depth=1
	s_or_b32 exec_lo, exec_lo, s46
	s_mov_b32 s2, 0
.LBB4_11:                               ;   in Loop: Header=BB4_4 Depth=1
	s_delay_alu instid0(SALU_CYCLE_1)
	s_and_not1_b32 vcc_lo, exec_lo, s2
	s_cbranch_vccnz .LBB4_3
; %bb.12:                               ;   in Loop: Header=BB4_4 Depth=1
	s_add_u32 s44, s67, s80
	s_addc_u32 s45, s68, s51
	s_add_u32 s46, s69, s81
	s_addc_u32 s47, s70, s50
	s_and_not1_b32 vcc_lo, exec_lo, s18
	s_mov_b32 s2, -1
	s_cbranch_vccnz .LBB4_19
; %bb.13:                               ;   in Loop: Header=BB4_4 Depth=1
	s_and_saveexec_b32 s82, s0
	s_cbranch_execz .LBB4_18
; %bb.14:                               ;   in Loop: Header=BB4_4 Depth=1
	s_lshl_b64 s[2:3], s[22:23], 2
	v_add_co_u32 v4, vcc_lo, v20, s79
	v_add_co_ci_u32_e32 v5, vcc_lo, s78, v21, vcc_lo
	s_add_u32 s2, s76, s2
	v_mov_b32_e32 v10, v1
	s_addc_u32 s3, s77, s3
	s_add_u32 s83, s2, -4
	s_addc_u32 s84, s3, -1
	s_mov_b32 s85, 0
	s_branch .LBB4_16
.LBB4_15:                               ;   in Loop: Header=BB4_16 Depth=2
	v_add_nc_u32_e32 v10, s26, v10
	v_add_co_u32 v6, vcc_lo, s76, v6
	v_add_co_ci_u32_e32 v7, vcc_lo, s77, v7, vcc_lo
	s_delay_alu instid0(VALU_DEP_3) | instskip(SKIP_1) | instid1(VALU_DEP_1)
	v_cmp_le_i32_e32 vcc_lo, s52, v10
	v_add_co_u32 v4, s2, v4, s36
	v_add_co_ci_u32_e64 v5, s2, s37, v5, s2
	s_or_b32 s85, vcc_lo, s85
	s_waitcnt vmcnt(0)
	global_store_b32 v[6:7], v11, off
	s_and_not1_b32 exec_lo, exec_lo, s85
	s_cbranch_execz .LBB4_18
.LBB4_16:                               ;   Parent Loop BB4_4 Depth=1
                                        ; =>  This Loop Header: Depth=2
                                        ;       Child Loop BB4_17 Depth 3
	v_mad_i64_i32 v[6:7], null, v10, s12, 0
	s_mov_b64 s[2:3], s[46:47]
	s_mov_b64 s[48:49], s[44:45]
	s_mov_b32 s86, s30
	s_delay_alu instid0(VALU_DEP_1) | instskip(NEXT) | instid1(VALU_DEP_1)
	v_lshlrev_b64 v[6:7], 2, v[6:7]
	v_add_co_u32 v8, vcc_lo, s83, v6
	s_delay_alu instid0(VALU_DEP_2)
	v_add_co_ci_u32_e32 v9, vcc_lo, s84, v7, vcc_lo
	s_and_not1_b32 vcc_lo, exec_lo, s54
	global_load_b32 v11, v[8:9], off
	v_dual_mov_b32 v9, v5 :: v_dual_mov_b32 v8, v4
	s_cbranch_vccnz .LBB4_15
	.p2align	6
.LBB4_17:                               ;   Parent Loop BB4_4 Depth=1
                                        ;     Parent Loop BB4_16 Depth=2
                                        ; =>    This Inner Loop Header: Depth=3
	global_load_b32 v14, v32, s[2:3]
	global_load_b32 v33, v[8:9], off offset:-4
	global_load_b32 v34, v32, s[48:49]
	s_waitcnt vmcnt(3)
	v_mov_b32_e32 v35, v11
	v_add_co_u32 v12, vcc_lo, v8, -4
	v_add_co_ci_u32_e32 v13, vcc_lo, -1, v9, vcc_lo
	s_add_i32 s86, s86, -1
	s_add_u32 s48, s48, -4
	s_addc_u32 s49, s49, -1
	s_add_u32 s2, s2, -4
	s_addc_u32 s3, s3, -1
	s_cmp_eq_u32 s86, 0
	s_waitcnt vmcnt(1)
	v_mul_f32_e32 v36, v14, v33
	s_waitcnt vmcnt(0)
	v_mul_f32_e32 v11, v34, v33
	s_delay_alu instid0(VALU_DEP_2)
	v_fma_f32 v33, v35, v34, -v36
	global_store_b32 v[8:9], v33, off
	v_dual_mov_b32 v8, v12 :: v_dual_fmac_f32 v11, v35, v14
	v_mov_b32_e32 v9, v13
	s_cbranch_scc0 .LBB4_17
	s_branch .LBB4_15
.LBB4_18:                               ;   in Loop: Header=BB4_4 Depth=1
	s_or_b32 exec_lo, exec_lo, s82
	s_mov_b32 s2, 0
.LBB4_19:                               ;   in Loop: Header=BB4_4 Depth=1
	s_delay_alu instid0(SALU_CYCLE_1)
	s_and_not1_b32 vcc_lo, exec_lo, s2
	s_cbranch_vccnz .LBB4_3
; %bb.20:                               ;   in Loop: Header=BB4_4 Depth=1
	s_and_not1_b32 vcc_lo, exec_lo, s55
	s_mov_b32 s2, -1
	s_cbranch_vccnz .LBB4_27
; %bb.21:                               ;   in Loop: Header=BB4_4 Depth=1
	s_and_saveexec_b32 s82, s0
	s_cbranch_execz .LBB4_26
; %bb.22:                               ;   in Loop: Header=BB4_4 Depth=1
	v_mov_b32_e32 v8, v1
	s_mov_b32 s83, 0
	s_branch .LBB4_24
.LBB4_23:                               ;   in Loop: Header=BB4_24 Depth=2
	v_add_nc_u32_e32 v8, s26, v8
	v_add_co_u32 v2, s2, v2, s36
	s_delay_alu instid0(VALU_DEP_1) | instskip(NEXT) | instid1(VALU_DEP_3)
	v_add_co_ci_u32_e64 v3, s2, s37, v3, s2
	v_cmp_le_i32_e32 vcc_lo, s52, v8
	s_waitcnt vmcnt(0)
	global_store_b32 v[4:5], v9, off
	s_or_b32 s83, vcc_lo, s83
	s_delay_alu instid0(SALU_CYCLE_1)
	s_and_not1_b32 exec_lo, exec_lo, s83
	s_cbranch_execz .LBB4_26
.LBB4_24:                               ;   Parent Loop BB4_4 Depth=1
                                        ; =>  This Loop Header: Depth=2
                                        ;       Child Loop BB4_25 Depth 3
	s_delay_alu instid0(VALU_DEP_1) | instskip(SKIP_4) | instid1(VALU_DEP_2)
	v_mad_i64_i32 v[4:5], null, v8, s12, 0
	v_dual_mov_b32 v7, v3 :: v_dual_mov_b32 v6, v2
	s_mov_b32 s84, s30
	s_mov_b64 s[2:3], s[20:21]
	s_mov_b64 s[48:49], s[42:43]
	v_lshlrev_b64 v[4:5], 2, v[4:5]
	s_delay_alu instid0(VALU_DEP_1) | instskip(NEXT) | instid1(VALU_DEP_2)
	v_add_co_u32 v4, vcc_lo, s76, v4
	v_add_co_ci_u32_e32 v5, vcc_lo, s77, v5, vcc_lo
	s_and_not1_b32 vcc_lo, exec_lo, s54
	global_load_b32 v9, v[4:5], off
	s_cbranch_vccnz .LBB4_23
	.p2align	6
.LBB4_25:                               ;   Parent Loop BB4_4 Depth=1
                                        ;     Parent Loop BB4_24 Depth=2
                                        ; =>    This Inner Loop Header: Depth=3
	s_clause 0x1
	global_load_b32 v10, v32, s[48:49]
	global_load_b32 v11, v32, s[2:3]
	global_load_b32 v12, v[6:7], off
	s_waitcnt vmcnt(3)
	v_mov_b32_e32 v13, v9
	s_add_u32 s48, s48, 4
	s_addc_u32 s49, s49, 0
	s_add_u32 s2, s2, 4
	s_addc_u32 s3, s3, 0
	s_add_i32 s84, s84, -1
	s_delay_alu instid0(SALU_CYCLE_1) | instskip(SKIP_2) | instid1(VALU_DEP_1)
	s_cmp_eq_u32 s84, 0
	s_waitcnt vmcnt(0)
	v_dual_mul_f32 v14, v13, v10 :: v_dual_mul_f32 v9, v10, v12
	v_fma_f32 v10, v11, v12, -v14
	s_delay_alu instid0(VALU_DEP_2)
	v_fmac_f32_e32 v9, v13, v11
	global_store_b32 v[6:7], v10, off
	v_add_co_u32 v6, vcc_lo, v6, 4
	v_add_co_ci_u32_e32 v7, vcc_lo, 0, v7, vcc_lo
	s_cbranch_scc0 .LBB4_25
	s_branch .LBB4_23
.LBB4_26:                               ;   in Loop: Header=BB4_4 Depth=1
	s_or_b32 exec_lo, exec_lo, s82
	s_mov_b32 s2, 0
.LBB4_27:                               ;   in Loop: Header=BB4_4 Depth=1
	s_delay_alu instid0(SALU_CYCLE_1)
	s_and_not1_b32 vcc_lo, exec_lo, s2
	s_cbranch_vccnz .LBB4_3
; %bb.28:                               ;   in Loop: Header=BB4_4 Depth=1
	s_and_not1_b32 vcc_lo, exec_lo, s56
	s_mov_b32 s2, -1
	s_cbranch_vccnz .LBB4_35
; %bb.29:                               ;   in Loop: Header=BB4_4 Depth=1
	s_and_saveexec_b32 s82, s0
	s_cbranch_execz .LBB4_34
; %bb.30:                               ;   in Loop: Header=BB4_4 Depth=1
	v_add_co_u32 v2, vcc_lo, v22, s79
	v_add_co_ci_u32_e32 v3, vcc_lo, s78, v23, vcc_lo
	v_mov_b32_e32 v8, v1
	s_mov_b32 s83, 0
	s_branch .LBB4_32
.LBB4_31:                               ;   in Loop: Header=BB4_32 Depth=2
	v_add_nc_u32_e32 v8, s26, v8
	v_add_co_u32 v2, s2, v2, s36
	s_delay_alu instid0(VALU_DEP_1) | instskip(NEXT) | instid1(VALU_DEP_3)
	v_add_co_ci_u32_e64 v3, s2, s37, v3, s2
	v_cmp_le_i32_e32 vcc_lo, s52, v8
	s_waitcnt vmcnt(0)
	global_store_b32 v[4:5], v9, off
	s_or_b32 s83, vcc_lo, s83
	s_delay_alu instid0(SALU_CYCLE_1)
	s_and_not1_b32 exec_lo, exec_lo, s83
	s_cbranch_execz .LBB4_34
.LBB4_32:                               ;   Parent Loop BB4_4 Depth=1
                                        ; =>  This Loop Header: Depth=2
                                        ;       Child Loop BB4_33 Depth 3
	s_delay_alu instid0(VALU_DEP_1) | instskip(SKIP_4) | instid1(VALU_DEP_2)
	v_mad_i64_i32 v[4:5], null, v8, s12, 0
	v_dual_mov_b32 v7, v3 :: v_dual_mov_b32 v6, v2
	s_mov_b64 s[2:3], s[46:47]
	s_mov_b64 s[48:49], s[44:45]
	s_mov_b32 s84, s31
	v_lshlrev_b64 v[4:5], 2, v[4:5]
	s_delay_alu instid0(VALU_DEP_1) | instskip(NEXT) | instid1(VALU_DEP_2)
	v_add_co_u32 v4, vcc_lo, s76, v4
	v_add_co_ci_u32_e32 v5, vcc_lo, s77, v5, vcc_lo
	s_and_not1_b32 vcc_lo, exec_lo, s54
	global_load_b32 v9, v[4:5], off
	s_cbranch_vccnz .LBB4_31
	.p2align	6
.LBB4_33:                               ;   Parent Loop BB4_4 Depth=1
                                        ;     Parent Loop BB4_32 Depth=2
                                        ; =>    This Inner Loop Header: Depth=3
	s_clause 0x1
	global_load_b32 v10, v32, s[2:3]
	global_load_b32 v11, v32, s[48:49]
	global_load_b32 v12, v[6:7], off
	s_waitcnt vmcnt(3)
	v_mov_b32_e32 v13, v9
	s_add_i32 s84, s84, -1
	s_add_u32 s48, s48, -4
	s_addc_u32 s49, s49, -1
	s_add_u32 s2, s2, -4
	s_addc_u32 s3, s3, -1
	s_cmp_lt_u32 s84, 3
	s_waitcnt vmcnt(0)
	v_dual_mul_f32 v14, v13, v10 :: v_dual_mul_f32 v9, v10, v12
	s_delay_alu instid0(VALU_DEP_1) | instskip(NEXT) | instid1(VALU_DEP_2)
	v_fma_f32 v10, v11, v12, -v14
	v_fmac_f32_e32 v9, v13, v11
	global_store_b32 v[6:7], v10, off
	v_add_co_u32 v6, vcc_lo, v6, -4
	v_add_co_ci_u32_e32 v7, vcc_lo, -1, v7, vcc_lo
	s_cbranch_scc0 .LBB4_33
	s_branch .LBB4_31
.LBB4_34:                               ;   in Loop: Header=BB4_4 Depth=1
	s_or_b32 exec_lo, exec_lo, s82
	s_mov_b32 s2, 0
.LBB4_35:                               ;   in Loop: Header=BB4_4 Depth=1
	s_delay_alu instid0(SALU_CYCLE_1)
	s_and_not1_b32 vcc_lo, exec_lo, s2
	s_cbranch_vccnz .LBB4_3
; %bb.36:                               ;   in Loop: Header=BB4_4 Depth=1
	s_and_not1_b32 vcc_lo, exec_lo, s57
	s_mov_b32 s2, -1
	s_cbranch_vccnz .LBB4_43
; %bb.37:                               ;   in Loop: Header=BB4_4 Depth=1
	s_and_saveexec_b32 s82, s0
	s_cbranch_execz .LBB4_42
; %bb.38:                               ;   in Loop: Header=BB4_4 Depth=1
	s_lshl_b64 s[2:3], s[22:23], 2
	v_add_co_u32 v2, vcc_lo, v0, s79
	v_add_co_ci_u32_e32 v3, vcc_lo, s78, v15, vcc_lo
	s_add_u32 s2, s76, s2
	v_mov_b32_e32 v8, v1
	s_addc_u32 s3, s77, s3
	s_add_u32 s83, s2, -4
	s_addc_u32 s84, s3, -1
	s_mov_b32 s85, 0
	s_branch .LBB4_40
.LBB4_39:                               ;   in Loop: Header=BB4_40 Depth=2
	v_add_nc_u32_e32 v8, s26, v8
	v_add_co_u32 v2, s2, v2, s36
	s_delay_alu instid0(VALU_DEP_1) | instskip(NEXT) | instid1(VALU_DEP_3)
	v_add_co_ci_u32_e64 v3, s2, s37, v3, s2
	v_cmp_le_i32_e32 vcc_lo, s52, v8
	s_waitcnt vmcnt(0)
	global_store_b32 v[4:5], v9, off
	s_or_b32 s85, vcc_lo, s85
	s_delay_alu instid0(SALU_CYCLE_1)
	s_and_not1_b32 exec_lo, exec_lo, s85
	s_cbranch_execz .LBB4_42
.LBB4_40:                               ;   Parent Loop BB4_4 Depth=1
                                        ; =>  This Loop Header: Depth=2
                                        ;       Child Loop BB4_41 Depth 3
	v_mad_i64_i32 v[4:5], null, v8, s12, 0
	v_dual_mov_b32 v7, v3 :: v_dual_mov_b32 v6, v2
	s_mov_b64 s[2:3], s[42:43]
	s_mov_b64 s[48:49], s[20:21]
	s_mov_b32 s86, s30
	s_delay_alu instid0(VALU_DEP_2) | instskip(NEXT) | instid1(VALU_DEP_1)
	v_lshlrev_b64 v[4:5], 2, v[4:5]
	v_add_co_u32 v4, vcc_lo, s83, v4
	s_delay_alu instid0(VALU_DEP_2)
	v_add_co_ci_u32_e32 v5, vcc_lo, s84, v5, vcc_lo
	s_and_not1_b32 vcc_lo, exec_lo, s54
	global_load_b32 v9, v[4:5], off
	s_cbranch_vccnz .LBB4_39
	.p2align	6
.LBB4_41:                               ;   Parent Loop BB4_4 Depth=1
                                        ;     Parent Loop BB4_40 Depth=2
                                        ; =>    This Inner Loop Header: Depth=3
	global_load_b32 v10, v[6:7], off
	s_clause 0x1
	global_load_b32 v11, v32, s[48:49]
	global_load_b32 v12, v32, s[2:3]
	s_add_i32 s86, s86, -1
	s_add_u32 s48, s48, 4
	s_addc_u32 s49, s49, 0
	s_add_u32 s2, s2, 4
	s_addc_u32 s3, s3, 0
	s_cmp_eq_u32 s86, 0
	s_waitcnt vmcnt(1)
	v_mul_f32_e32 v13, v11, v10
	s_waitcnt vmcnt(0)
	s_delay_alu instid0(VALU_DEP_1) | instskip(NEXT) | instid1(VALU_DEP_1)
	v_dual_mul_f32 v10, v12, v10 :: v_dual_fmac_f32 v13, v9, v12
	v_fma_f32 v9, v9, v11, -v10
	global_store_b32 v[6:7], v13, off
	v_add_co_u32 v6, vcc_lo, v6, 4
	v_add_co_ci_u32_e32 v7, vcc_lo, 0, v7, vcc_lo
	s_cbranch_scc0 .LBB4_41
	s_branch .LBB4_39
.LBB4_42:                               ;   in Loop: Header=BB4_4 Depth=1
	s_or_b32 exec_lo, exec_lo, s82
	s_mov_b32 s2, 0
.LBB4_43:                               ;   in Loop: Header=BB4_4 Depth=1
	s_delay_alu instid0(SALU_CYCLE_1)
	s_and_not1_b32 vcc_lo, exec_lo, s2
	s_cbranch_vccnz .LBB4_3
; %bb.44:                               ;   in Loop: Header=BB4_4 Depth=1
	s_and_not1_b32 vcc_lo, exec_lo, s58
	s_mov_b32 s2, -1
	s_cbranch_vccnz .LBB4_51
; %bb.45:                               ;   in Loop: Header=BB4_4 Depth=1
	s_and_saveexec_b32 s82, s0
	s_cbranch_execz .LBB4_50
; %bb.46:                               ;   in Loop: Header=BB4_4 Depth=1
	s_lshl_b64 s[2:3], s[22:23], 2
	v_add_co_u32 v2, vcc_lo, v18, s79
	v_add_co_ci_u32_e32 v3, vcc_lo, s78, v19, vcc_lo
	s_add_u32 s2, s76, s2
	v_mov_b32_e32 v8, v1
	s_addc_u32 s3, s77, s3
	s_add_u32 s83, s2, -4
	s_addc_u32 s84, s3, -1
	s_mov_b32 s85, 0
	s_branch .LBB4_48
.LBB4_47:                               ;   in Loop: Header=BB4_48 Depth=2
	v_add_nc_u32_e32 v8, s26, v8
	v_add_co_u32 v2, s2, v2, s36
	s_delay_alu instid0(VALU_DEP_1) | instskip(NEXT) | instid1(VALU_DEP_3)
	v_add_co_ci_u32_e64 v3, s2, s37, v3, s2
	v_cmp_le_i32_e32 vcc_lo, s52, v8
	s_waitcnt vmcnt(0)
	global_store_b32 v[4:5], v9, off
	s_or_b32 s85, vcc_lo, s85
	s_delay_alu instid0(SALU_CYCLE_1)
	s_and_not1_b32 exec_lo, exec_lo, s85
	s_cbranch_execz .LBB4_50
.LBB4_48:                               ;   Parent Loop BB4_4 Depth=1
                                        ; =>  This Loop Header: Depth=2
                                        ;       Child Loop BB4_49 Depth 3
	v_mad_i64_i32 v[4:5], null, v8, s12, 0
	v_dual_mov_b32 v7, v3 :: v_dual_mov_b32 v6, v2
	s_mov_b64 s[2:3], s[46:47]
	s_mov_b64 s[48:49], s[44:45]
	s_mov_b32 s86, s30
	s_delay_alu instid0(VALU_DEP_2) | instskip(NEXT) | instid1(VALU_DEP_1)
	v_lshlrev_b64 v[4:5], 2, v[4:5]
	v_add_co_u32 v4, vcc_lo, s83, v4
	s_delay_alu instid0(VALU_DEP_2)
	v_add_co_ci_u32_e32 v5, vcc_lo, s84, v5, vcc_lo
	s_and_not1_b32 vcc_lo, exec_lo, s54
	global_load_b32 v9, v[4:5], off
	s_cbranch_vccnz .LBB4_47
	.p2align	6
.LBB4_49:                               ;   Parent Loop BB4_4 Depth=1
                                        ;     Parent Loop BB4_48 Depth=2
                                        ; =>    This Inner Loop Header: Depth=3
	global_load_b32 v10, v[6:7], off
	s_clause 0x1
	global_load_b32 v11, v32, s[48:49]
	global_load_b32 v12, v32, s[2:3]
	s_add_i32 s86, s86, -1
	s_add_u32 s48, s48, -4
	s_addc_u32 s49, s49, -1
	s_add_u32 s2, s2, -4
	s_addc_u32 s3, s3, -1
	s_cmp_eq_u32 s86, 0
	s_waitcnt vmcnt(1)
	v_mul_f32_e32 v13, v11, v10
	s_waitcnt vmcnt(0)
	s_delay_alu instid0(VALU_DEP_1) | instskip(NEXT) | instid1(VALU_DEP_1)
	v_dual_mul_f32 v10, v12, v10 :: v_dual_fmac_f32 v13, v9, v12
	v_fma_f32 v9, v9, v11, -v10
	global_store_b32 v[6:7], v13, off
	v_add_co_u32 v6, vcc_lo, v6, -4
	v_add_co_ci_u32_e32 v7, vcc_lo, -1, v7, vcc_lo
	s_cbranch_scc0 .LBB4_49
	s_branch .LBB4_47
.LBB4_50:                               ;   in Loop: Header=BB4_4 Depth=1
	s_or_b32 exec_lo, exec_lo, s82
	s_mov_b32 s2, 0
.LBB4_51:                               ;   in Loop: Header=BB4_4 Depth=1
	s_delay_alu instid0(SALU_CYCLE_1)
	s_and_not1_b32 vcc_lo, exec_lo, s2
	s_cbranch_vccnz .LBB4_3
; %bb.52:                               ;   in Loop: Header=BB4_4 Depth=1
	v_add_co_u32 v2, vcc_lo, v24, s79
	v_add_co_ci_u32_e32 v3, vcc_lo, s78, v25, vcc_lo
	s_and_not1_b32 vcc_lo, exec_lo, s59
	s_mov_b32 s2, -1
	s_cbranch_vccnz .LBB4_59
; %bb.53:                               ;   in Loop: Header=BB4_4 Depth=1
	s_and_saveexec_b32 s46, s1
	s_cbranch_execz .LBB4_58
; %bb.54:                               ;   in Loop: Header=BB4_4 Depth=1
	s_lshl_b64 s[2:3], s[28:29], 2
	v_dual_mov_b32 v5, v3 :: v_dual_mov_b32 v4, v2
	v_mov_b32_e32 v6, v1
	s_add_u32 s47, s76, s2
	s_addc_u32 s48, s77, s3
	s_mov_b32 s49, 0
	s_branch .LBB4_56
.LBB4_55:                               ;   in Loop: Header=BB4_56 Depth=2
	v_add_nc_u32_e32 v6, s26, v6
	v_add_co_u32 v7, vcc_lo, s47, v7
	v_add_co_ci_u32_e32 v8, vcc_lo, s48, v8, vcc_lo
	s_delay_alu instid0(VALU_DEP_3) | instskip(SKIP_1) | instid1(VALU_DEP_1)
	v_cmp_le_i32_e32 vcc_lo, s19, v6
	v_add_co_u32 v4, s2, v4, s40
	v_add_co_ci_u32_e64 v5, s2, s41, v5, s2
	s_or_b32 s49, vcc_lo, s49
	s_waitcnt vmcnt(0)
	global_store_b32 v[7:8], v11, off
	s_and_not1_b32 exec_lo, exec_lo, s49
	s_cbranch_execz .LBB4_58
.LBB4_56:                               ;   Parent Loop BB4_4 Depth=1
                                        ; =>  This Loop Header: Depth=2
                                        ;       Child Loop BB4_57 Depth 3
	v_ashrrev_i32_e32 v7, 31, v6
	s_mov_b64 s[2:3], s[42:43]
	s_mov_b64 s[44:45], s[20:21]
	s_mov_b32 s82, s60
	s_delay_alu instid0(VALU_DEP_1) | instskip(NEXT) | instid1(VALU_DEP_1)
	v_lshlrev_b64 v[7:8], 2, v[6:7]
	v_add_co_u32 v9, vcc_lo, s76, v7
	s_delay_alu instid0(VALU_DEP_2)
	v_add_co_ci_u32_e32 v10, vcc_lo, s77, v8, vcc_lo
	s_and_not1_b32 vcc_lo, exec_lo, s62
	global_load_b32 v11, v[9:10], off
	v_dual_mov_b32 v10, v5 :: v_dual_mov_b32 v9, v4
	s_cbranch_vccnz .LBB4_55
	.p2align	6
.LBB4_57:                               ;   Parent Loop BB4_4 Depth=1
                                        ;     Parent Loop BB4_56 Depth=2
                                        ; =>    This Inner Loop Header: Depth=3
	s_delay_alu instid0(VALU_DEP_1) | instskip(NEXT) | instid1(VALU_DEP_2)
	v_add_co_u32 v12, vcc_lo, v9, s38
	v_add_co_ci_u32_e32 v13, vcc_lo, s39, v10, vcc_lo
	s_add_i32 s82, s82, -1
	global_load_b32 v14, v32, s[2:3]
	global_load_b32 v33, v[12:13], off
	global_load_b32 v34, v32, s[44:45]
	s_add_u32 s44, s44, 4
	s_addc_u32 s45, s45, 0
	s_add_u32 s2, s2, 4
	s_addc_u32 s3, s3, 0
	s_cmp_eq_u32 s82, 0
	s_waitcnt vmcnt(1)
	v_dual_mul_f32 v35, v14, v33 :: v_dual_mul_f32 v14, v11, v14
	s_waitcnt vmcnt(0)
	s_delay_alu instid0(VALU_DEP_1) | instskip(NEXT) | instid1(VALU_DEP_2)
	v_fmac_f32_e32 v35, v11, v34
	v_fma_f32 v11, v34, v33, -v14
	global_store_b32 v[9:10], v35, off
	v_dual_mov_b32 v9, v12 :: v_dual_mov_b32 v10, v13
	s_cbranch_scc0 .LBB4_57
	s_branch .LBB4_55
.LBB4_58:                               ;   in Loop: Header=BB4_4 Depth=1
	s_or_b32 exec_lo, exec_lo, s46
	s_mov_b32 s2, 0
.LBB4_59:                               ;   in Loop: Header=BB4_4 Depth=1
	s_delay_alu instid0(SALU_CYCLE_1)
	s_and_not1_b32 vcc_lo, exec_lo, s2
	s_cbranch_vccnz .LBB4_3
; %bb.60:                               ;   in Loop: Header=BB4_4 Depth=1
	v_add_co_u32 v4, vcc_lo, v28, s79
	v_add_co_ci_u32_e32 v5, vcc_lo, s78, v29, vcc_lo
	v_add_co_u32 v6, vcc_lo, v26, s79
	s_add_u32 s44, s27, s80
	v_add_co_ci_u32_e32 v7, vcc_lo, s78, v27, vcc_lo
	s_addc_u32 s45, s71, s51
	s_add_u32 s46, s72, s81
	s_addc_u32 s47, s13, s50
	s_and_not1_b32 vcc_lo, exec_lo, s61
	s_mov_b32 s2, -1
	s_cbranch_vccnz .LBB4_68
; %bb.61:                               ;   in Loop: Header=BB4_4 Depth=1
	s_and_saveexec_b32 s80, s1
	s_cbranch_execz .LBB4_67
; %bb.62:                               ;   in Loop: Header=BB4_4 Depth=1
	s_lshl_b64 s[2:3], s[28:29], 2
	v_dual_mov_b32 v9, v5 :: v_dual_mov_b32 v8, v4
	v_dual_mov_b32 v11, v7 :: v_dual_mov_b32 v10, v6
	v_mov_b32_e32 v12, v1
	s_add_u32 s81, s76, s2
	s_addc_u32 s82, s77, s3
	s_mov_b32 s83, 0
	s_branch .LBB4_64
.LBB4_63:                               ;   in Loop: Header=BB4_64 Depth=2
	v_add_co_u32 v13, vcc_lo, s76, v13
	v_add_nc_u32_e32 v12, s26, v12
	v_add_co_ci_u32_e32 v14, vcc_lo, s77, v14, vcc_lo
	v_add_co_u32 v10, vcc_lo, v10, s40
	v_add_co_ci_u32_e32 v11, vcc_lo, s41, v11, vcc_lo
	s_delay_alu instid0(VALU_DEP_4) | instskip(SKIP_1) | instid1(VALU_DEP_1)
	v_cmp_le_i32_e32 vcc_lo, s19, v12
	v_add_co_u32 v8, s2, v8, s40
	v_add_co_ci_u32_e64 v9, s2, s41, v9, s2
	s_or_b32 s83, vcc_lo, s83
	s_waitcnt vmcnt(0)
	global_store_b32 v[13:14], v33, off
	s_and_not1_b32 exec_lo, exec_lo, s83
	s_cbranch_execz .LBB4_67
.LBB4_64:                               ;   Parent Loop BB4_4 Depth=1
                                        ; =>  This Loop Header: Depth=2
                                        ;       Child Loop BB4_66 Depth 3
	v_ashrrev_i32_e32 v13, 31, v12
	s_delay_alu instid0(VALU_DEP_1) | instskip(NEXT) | instid1(VALU_DEP_1)
	v_lshlrev_b64 v[13:14], 2, v[12:13]
	v_add_co_u32 v33, vcc_lo, s81, v13
	s_delay_alu instid0(VALU_DEP_2)
	v_add_co_ci_u32_e32 v34, vcc_lo, s82, v14, vcc_lo
	s_and_not1_b32 vcc_lo, exec_lo, s62
	global_load_b32 v33, v[33:34], off
	s_cbranch_vccnz .LBB4_63
; %bb.65:                               ;   in Loop: Header=BB4_64 Depth=2
	s_mov_b64 s[2:3], 0
	s_mov_b64 s[48:49], s[46:47]
	;; [unrolled: 1-line block ×3, first 2 shown]
	s_mov_b32 s84, s60
	.p2align	6
.LBB4_66:                               ;   Parent Loop BB4_4 Depth=1
                                        ;     Parent Loop BB4_64 Depth=2
                                        ; =>    This Inner Loop Header: Depth=3
	v_add_co_u32 v34, vcc_lo, v8, s2
	v_add_co_ci_u32_e32 v35, vcc_lo, s3, v9, vcc_lo
	s_waitcnt vmcnt(0)
	v_mov_b32_e32 v39, v33
	s_clause 0x1
	global_load_b32 v36, v32, s[50:51]
	global_load_b32 v37, v32, s[48:49]
	global_load_b32 v38, v[34:35], off
	v_add_co_u32 v34, vcc_lo, v10, s2
	s_add_i32 s84, s84, -1
	s_sub_u32 s2, s2, s38
	v_add_co_ci_u32_e32 v35, vcc_lo, s3, v11, vcc_lo
	s_subb_u32 s3, s3, s39
	s_add_u32 s50, s50, -4
	s_addc_u32 s51, s51, -1
	s_add_u32 s48, s48, -4
	s_addc_u32 s49, s49, -1
	s_cmp_eq_u32 s84, 0
	s_waitcnt vmcnt(0)
	v_mul_f32_e32 v33, v36, v38
	s_delay_alu instid0(VALU_DEP_1) | instskip(NEXT) | instid1(VALU_DEP_1)
	v_dual_mul_f32 v40, v37, v38 :: v_dual_fmac_f32 v33, v39, v37
	v_fma_f32 v36, v39, v36, -v40
	global_store_b32 v[34:35], v36, off
	s_cbranch_scc0 .LBB4_66
	s_branch .LBB4_63
.LBB4_67:                               ;   in Loop: Header=BB4_4 Depth=1
	s_or_b32 exec_lo, exec_lo, s80
	s_mov_b32 s2, 0
.LBB4_68:                               ;   in Loop: Header=BB4_4 Depth=1
	s_delay_alu instid0(SALU_CYCLE_1)
	s_and_not1_b32 vcc_lo, exec_lo, s2
	s_cbranch_vccnz .LBB4_3
; %bb.69:                               ;   in Loop: Header=BB4_4 Depth=1
	s_and_not1_b32 vcc_lo, exec_lo, s63
	s_mov_b32 s2, -1
	s_cbranch_vccnz .LBB4_76
; %bb.70:                               ;   in Loop: Header=BB4_4 Depth=1
	s_and_saveexec_b32 s50, s1
	s_cbranch_execz .LBB4_75
; %bb.71:                               ;   in Loop: Header=BB4_4 Depth=1
	v_add_co_u32 v8, vcc_lo, v30, s79
	v_add_co_ci_u32_e32 v9, vcc_lo, s78, v31, vcc_lo
	v_mov_b32_e32 v10, v1
	s_mov_b32 s51, 0
	s_branch .LBB4_73
.LBB4_72:                               ;   in Loop: Header=BB4_73 Depth=2
	v_add_nc_u32_e32 v10, s26, v10
	v_add_co_u32 v8, s2, v8, s40
	s_delay_alu instid0(VALU_DEP_1) | instskip(NEXT) | instid1(VALU_DEP_3)
	v_add_co_ci_u32_e64 v9, s2, s41, v9, s2
	v_cmp_le_i32_e32 vcc_lo, s19, v10
	s_waitcnt vmcnt(0)
	global_store_b32 v[11:12], v33, off
	s_or_b32 s51, vcc_lo, s51
	s_delay_alu instid0(SALU_CYCLE_1)
	s_and_not1_b32 exec_lo, exec_lo, s51
	s_cbranch_execz .LBB4_75
.LBB4_73:                               ;   Parent Loop BB4_4 Depth=1
                                        ; =>  This Loop Header: Depth=2
                                        ;       Child Loop BB4_74 Depth 3
	s_delay_alu instid0(VALU_DEP_1) | instskip(SKIP_3) | instid1(VALU_DEP_2)
	v_ashrrev_i32_e32 v11, 31, v10
	v_dual_mov_b32 v14, v9 :: v_dual_mov_b32 v13, v8
	s_mov_b32 s78, s60
	s_mov_b64 s[2:3], s[20:21]
	v_lshlrev_b64 v[11:12], 2, v[10:11]
	s_mov_b64 s[48:49], s[42:43]
	s_delay_alu instid0(VALU_DEP_1) | instskip(NEXT) | instid1(VALU_DEP_2)
	v_add_co_u32 v11, vcc_lo, s76, v11
	v_add_co_ci_u32_e32 v12, vcc_lo, s77, v12, vcc_lo
	s_and_not1_b32 vcc_lo, exec_lo, s62
	global_load_b32 v33, v[11:12], off
	s_cbranch_vccnz .LBB4_72
	.p2align	6
.LBB4_74:                               ;   Parent Loop BB4_4 Depth=1
                                        ;     Parent Loop BB4_73 Depth=2
                                        ; =>    This Inner Loop Header: Depth=3
	s_clause 0x1
	global_load_b32 v34, v32, s[48:49]
	global_load_b32 v35, v32, s[2:3]
	global_load_b32 v36, v[13:14], off
	s_waitcnt vmcnt(3)
	v_mov_b32_e32 v37, v33
	s_add_u32 s48, s48, 4
	s_addc_u32 s49, s49, 0
	s_add_u32 s2, s2, 4
	s_addc_u32 s3, s3, 0
	s_add_i32 s78, s78, -1
	s_delay_alu instid0(SALU_CYCLE_1) | instskip(SKIP_2) | instid1(VALU_DEP_1)
	s_cmp_eq_u32 s78, 0
	s_waitcnt vmcnt(0)
	v_dual_mul_f32 v38, v37, v34 :: v_dual_mul_f32 v33, v34, v36
	v_fma_f32 v34, v35, v36, -v38
	s_delay_alu instid0(VALU_DEP_2)
	v_fmac_f32_e32 v33, v37, v35
	global_store_b32 v[13:14], v34, off
	v_add_co_u32 v13, vcc_lo, v13, s38
	v_add_co_ci_u32_e32 v14, vcc_lo, s39, v14, vcc_lo
	s_cbranch_scc0 .LBB4_74
	s_branch .LBB4_72
.LBB4_75:                               ;   in Loop: Header=BB4_4 Depth=1
	s_or_b32 exec_lo, exec_lo, s50
	s_mov_b32 s2, 0
.LBB4_76:                               ;   in Loop: Header=BB4_4 Depth=1
	s_delay_alu instid0(SALU_CYCLE_1)
	s_and_not1_b32 vcc_lo, exec_lo, s2
	s_cbranch_vccnz .LBB4_3
; %bb.77:                               ;   in Loop: Header=BB4_4 Depth=1
	s_and_not1_b32 vcc_lo, exec_lo, s64
	s_mov_b32 s2, -1
	s_cbranch_vccnz .LBB4_84
; %bb.78:                               ;   in Loop: Header=BB4_4 Depth=1
	s_and_saveexec_b32 s50, s1
	s_cbranch_execz .LBB4_83
; %bb.79:                               ;   in Loop: Header=BB4_4 Depth=1
	v_mov_b32_e32 v8, v1
	s_mov_b32 s51, 0
	s_branch .LBB4_81
.LBB4_80:                               ;   in Loop: Header=BB4_81 Depth=2
	v_add_nc_u32_e32 v8, s26, v8
	v_add_co_u32 v6, s2, v6, s40
	s_delay_alu instid0(VALU_DEP_1) | instskip(NEXT) | instid1(VALU_DEP_3)
	v_add_co_ci_u32_e64 v7, s2, s41, v7, s2
	v_cmp_le_i32_e32 vcc_lo, s19, v8
	s_waitcnt vmcnt(0)
	global_store_b32 v[9:10], v13, off
	s_or_b32 s51, vcc_lo, s51
	s_delay_alu instid0(SALU_CYCLE_1)
	s_and_not1_b32 exec_lo, exec_lo, s51
	s_cbranch_execz .LBB4_83
.LBB4_81:                               ;   Parent Loop BB4_4 Depth=1
                                        ; =>  This Loop Header: Depth=2
                                        ;       Child Loop BB4_82 Depth 3
	s_delay_alu instid0(VALU_DEP_1) | instskip(SKIP_3) | instid1(VALU_DEP_2)
	v_ashrrev_i32_e32 v9, 31, v8
	v_dual_mov_b32 v12, v7 :: v_dual_mov_b32 v11, v6
	s_mov_b64 s[2:3], s[46:47]
	s_mov_b64 s[48:49], s[44:45]
	v_lshlrev_b64 v[9:10], 2, v[8:9]
	s_mov_b32 s78, s73
	s_delay_alu instid0(VALU_DEP_1) | instskip(NEXT) | instid1(VALU_DEP_2)
	v_add_co_u32 v9, vcc_lo, s76, v9
	v_add_co_ci_u32_e32 v10, vcc_lo, s77, v10, vcc_lo
	s_and_not1_b32 vcc_lo, exec_lo, s62
	global_load_b32 v13, v[9:10], off
	s_cbranch_vccnz .LBB4_80
	.p2align	6
.LBB4_82:                               ;   Parent Loop BB4_4 Depth=1
                                        ;     Parent Loop BB4_81 Depth=2
                                        ; =>    This Inner Loop Header: Depth=3
	s_clause 0x1
	global_load_b32 v14, v32, s[2:3]
	global_load_b32 v33, v32, s[48:49]
	global_load_b32 v34, v[11:12], off
	s_waitcnt vmcnt(3)
	v_mov_b32_e32 v35, v13
	s_add_i32 s78, s78, -1
	s_add_u32 s48, s48, -4
	s_addc_u32 s49, s49, -1
	s_add_u32 s2, s2, -4
	s_addc_u32 s3, s3, -1
	s_cmp_lt_u32 s78, 3
	s_waitcnt vmcnt(2)
	v_mul_f32_e32 v36, v35, v14
	s_waitcnt vmcnt(0)
	v_mul_f32_e32 v13, v14, v34
	s_delay_alu instid0(VALU_DEP_2) | instskip(NEXT) | instid1(VALU_DEP_2)
	v_fma_f32 v14, v33, v34, -v36
	v_fmac_f32_e32 v13, v35, v33
	global_store_b32 v[11:12], v14, off
	v_add_co_u32 v11, vcc_lo, v11, s74
	v_add_co_ci_u32_e32 v12, vcc_lo, s75, v12, vcc_lo
	s_cbranch_scc0 .LBB4_82
	s_branch .LBB4_80
.LBB4_83:                               ;   in Loop: Header=BB4_4 Depth=1
	s_or_b32 exec_lo, exec_lo, s50
	s_mov_b32 s2, 0
.LBB4_84:                               ;   in Loop: Header=BB4_4 Depth=1
	s_delay_alu instid0(SALU_CYCLE_1)
	s_and_not1_b32 vcc_lo, exec_lo, s2
	s_cbranch_vccnz .LBB4_3
; %bb.85:                               ;   in Loop: Header=BB4_4 Depth=1
	s_and_not1_b32 vcc_lo, exec_lo, s65
	s_mov_b32 s2, -1
	s_cbranch_vccnz .LBB4_92
; %bb.86:                               ;   in Loop: Header=BB4_4 Depth=1
	s_and_saveexec_b32 s50, s1
	s_cbranch_execz .LBB4_91
; %bb.87:                               ;   in Loop: Header=BB4_4 Depth=1
	s_lshl_b64 s[2:3], s[28:29], 2
	v_mov_b32_e32 v6, v1
	s_add_u32 s51, s76, s2
	s_addc_u32 s78, s77, s3
	s_mov_b32 s79, 0
	s_branch .LBB4_89
.LBB4_88:                               ;   in Loop: Header=BB4_89 Depth=2
	v_add_nc_u32_e32 v6, s26, v6
	v_add_co_u32 v2, s2, v2, s40
	s_delay_alu instid0(VALU_DEP_1) | instskip(NEXT) | instid1(VALU_DEP_3)
	v_add_co_ci_u32_e64 v3, s2, s41, v3, s2
	v_cmp_le_i32_e32 vcc_lo, s19, v6
	s_waitcnt vmcnt(0)
	global_store_b32 v[7:8], v11, off
	s_or_b32 s79, vcc_lo, s79
	s_delay_alu instid0(SALU_CYCLE_1)
	s_and_not1_b32 exec_lo, exec_lo, s79
	s_cbranch_execz .LBB4_91
.LBB4_89:                               ;   Parent Loop BB4_4 Depth=1
                                        ; =>  This Loop Header: Depth=2
                                        ;       Child Loop BB4_90 Depth 3
	v_ashrrev_i32_e32 v7, 31, v6
	v_dual_mov_b32 v10, v3 :: v_dual_mov_b32 v9, v2
	s_mov_b64 s[2:3], s[42:43]
	s_mov_b64 s[48:49], s[20:21]
	s_delay_alu instid0(VALU_DEP_2) | instskip(SKIP_1) | instid1(VALU_DEP_1)
	v_lshlrev_b64 v[7:8], 2, v[6:7]
	s_mov_b32 s80, s60
	v_add_co_u32 v7, vcc_lo, s51, v7
	s_delay_alu instid0(VALU_DEP_2)
	v_add_co_ci_u32_e32 v8, vcc_lo, s78, v8, vcc_lo
	s_and_not1_b32 vcc_lo, exec_lo, s62
	global_load_b32 v11, v[7:8], off
	s_cbranch_vccnz .LBB4_88
	.p2align	6
.LBB4_90:                               ;   Parent Loop BB4_4 Depth=1
                                        ;     Parent Loop BB4_89 Depth=2
                                        ; =>    This Inner Loop Header: Depth=3
	global_load_b32 v12, v[9:10], off
	s_clause 0x1
	global_load_b32 v13, v32, s[48:49]
	global_load_b32 v14, v32, s[2:3]
	s_add_i32 s80, s80, -1
	s_add_u32 s48, s48, 4
	s_addc_u32 s49, s49, 0
	s_add_u32 s2, s2, 4
	s_addc_u32 s3, s3, 0
	s_cmp_eq_u32 s80, 0
	s_waitcnt vmcnt(1)
	v_mul_f32_e32 v33, v13, v12
	s_waitcnt vmcnt(0)
	s_delay_alu instid0(VALU_DEP_1) | instskip(NEXT) | instid1(VALU_DEP_1)
	v_dual_mul_f32 v12, v14, v12 :: v_dual_fmac_f32 v33, v11, v14
	v_fma_f32 v11, v11, v13, -v12
	global_store_b32 v[9:10], v33, off
	v_add_co_u32 v9, vcc_lo, v9, s38
	v_add_co_ci_u32_e32 v10, vcc_lo, s39, v10, vcc_lo
	s_cbranch_scc0 .LBB4_90
	s_branch .LBB4_88
.LBB4_91:                               ;   in Loop: Header=BB4_4 Depth=1
	s_or_b32 exec_lo, exec_lo, s50
	s_mov_b32 s2, 0
.LBB4_92:                               ;   in Loop: Header=BB4_4 Depth=1
	s_delay_alu instid0(SALU_CYCLE_1)
	s_and_not1_b32 vcc_lo, exec_lo, s2
	s_cbranch_vccnz .LBB4_3
; %bb.93:                               ;   in Loop: Header=BB4_4 Depth=1
	s_and_saveexec_b32 s42, s66
	s_cbranch_execz .LBB4_2
; %bb.94:                               ;   in Loop: Header=BB4_4 Depth=1
	s_lshl_b64 s[2:3], s[28:29], 2
	v_mov_b32_e32 v2, v1
	s_add_u32 s43, s76, s2
	s_addc_u32 s48, s77, s3
	s_mov_b32 s49, 0
	s_branch .LBB4_96
.LBB4_95:                               ;   in Loop: Header=BB4_96 Depth=2
	v_add_nc_u32_e32 v2, s26, v2
	v_add_co_u32 v4, s2, v4, s40
	s_delay_alu instid0(VALU_DEP_1) | instskip(NEXT) | instid1(VALU_DEP_3)
	v_add_co_ci_u32_e64 v5, s2, s41, v5, s2
	v_cmp_le_i32_e32 vcc_lo, s19, v2
	s_waitcnt vmcnt(0)
	global_store_b32 v[6:7], v3, off
	s_or_b32 s49, vcc_lo, s49
	s_delay_alu instid0(SALU_CYCLE_1)
	s_and_not1_b32 exec_lo, exec_lo, s49
	s_cbranch_execz .LBB4_2
.LBB4_96:                               ;   Parent Loop BB4_4 Depth=1
                                        ; =>  This Loop Header: Depth=2
                                        ;       Child Loop BB4_97 Depth 3
	v_ashrrev_i32_e32 v3, 31, v2
	v_dual_mov_b32 v9, v5 :: v_dual_mov_b32 v8, v4
	s_mov_b64 s[2:3], s[46:47]
	s_mov_b64 s[20:21], s[44:45]
	s_delay_alu instid0(VALU_DEP_2) | instskip(SKIP_1) | instid1(VALU_DEP_1)
	v_lshlrev_b64 v[6:7], 2, v[2:3]
	s_mov_b32 s50, s60
	v_add_co_u32 v6, vcc_lo, s43, v6
	s_delay_alu instid0(VALU_DEP_2)
	v_add_co_ci_u32_e32 v7, vcc_lo, s48, v7, vcc_lo
	s_and_not1_b32 vcc_lo, exec_lo, s62
	global_load_b32 v3, v[6:7], off
	s_cbranch_vccnz .LBB4_95
	.p2align	6
.LBB4_97:                               ;   Parent Loop BB4_4 Depth=1
                                        ;     Parent Loop BB4_96 Depth=2
                                        ; =>    This Inner Loop Header: Depth=3
	global_load_b32 v10, v[8:9], off
	s_clause 0x1
	global_load_b32 v11, v32, s[20:21]
	global_load_b32 v12, v32, s[2:3]
	s_add_i32 s50, s50, -1
	s_add_u32 s20, s20, -4
	s_addc_u32 s21, s21, -1
	s_add_u32 s2, s2, -4
	s_addc_u32 s3, s3, -1
	s_cmp_eq_u32 s50, 0
	s_waitcnt vmcnt(1)
	v_mul_f32_e32 v13, v11, v10
	s_waitcnt vmcnt(0)
	s_delay_alu instid0(VALU_DEP_1) | instskip(NEXT) | instid1(VALU_DEP_1)
	v_dual_mul_f32 v10, v12, v10 :: v_dual_fmac_f32 v13, v3, v12
	v_fma_f32 v3, v3, v11, -v10
	global_store_b32 v[8:9], v13, off
	v_add_co_u32 v8, vcc_lo, v8, s74
	v_add_co_ci_u32_e32 v9, vcc_lo, s75, v9, vcc_lo
	s_cbranch_scc0 .LBB4_97
	s_branch .LBB4_95
.LBB4_98:
	s_nop 0
	s_sendmsg sendmsg(MSG_DEALLOC_VGPRS)
	s_endpgm
	.section	.rodata,"a",@progbits
	.p2align	6, 0x0
	.amdhsa_kernel _ZN9rocsolver6v33100L11lasr_kernelIffPfiEEv13rocblas_side_14rocblas_pivot_15rocblas_direct_T2_S6_PT0_lS8_lT1_lS6_lS6_
		.amdhsa_group_segment_fixed_size 0
		.amdhsa_private_segment_fixed_size 0
		.amdhsa_kernarg_size 352
		.amdhsa_user_sgpr_count 14
		.amdhsa_user_sgpr_dispatch_ptr 0
		.amdhsa_user_sgpr_queue_ptr 0
		.amdhsa_user_sgpr_kernarg_segment_ptr 1
		.amdhsa_user_sgpr_dispatch_id 0
		.amdhsa_user_sgpr_private_segment_size 0
		.amdhsa_wavefront_size32 1
		.amdhsa_uses_dynamic_stack 0
		.amdhsa_enable_private_segment 0
		.amdhsa_system_sgpr_workgroup_id_x 1
		.amdhsa_system_sgpr_workgroup_id_y 0
		.amdhsa_system_sgpr_workgroup_id_z 1
		.amdhsa_system_sgpr_workgroup_info 0
		.amdhsa_system_vgpr_workitem_id 0
		.amdhsa_next_free_vgpr 41
		.amdhsa_next_free_sgpr 87
		.amdhsa_reserve_vcc 1
		.amdhsa_float_round_mode_32 0
		.amdhsa_float_round_mode_16_64 0
		.amdhsa_float_denorm_mode_32 3
		.amdhsa_float_denorm_mode_16_64 3
		.amdhsa_dx10_clamp 1
		.amdhsa_ieee_mode 1
		.amdhsa_fp16_overflow 0
		.amdhsa_workgroup_processor_mode 1
		.amdhsa_memory_ordered 1
		.amdhsa_forward_progress 0
		.amdhsa_shared_vgpr_count 0
		.amdhsa_exception_fp_ieee_invalid_op 0
		.amdhsa_exception_fp_denorm_src 0
		.amdhsa_exception_fp_ieee_div_zero 0
		.amdhsa_exception_fp_ieee_overflow 0
		.amdhsa_exception_fp_ieee_underflow 0
		.amdhsa_exception_fp_ieee_inexact 0
		.amdhsa_exception_int_div_zero 0
	.end_amdhsa_kernel
	.section	.text._ZN9rocsolver6v33100L11lasr_kernelIffPfiEEv13rocblas_side_14rocblas_pivot_15rocblas_direct_T2_S6_PT0_lS8_lT1_lS6_lS6_,"axG",@progbits,_ZN9rocsolver6v33100L11lasr_kernelIffPfiEEv13rocblas_side_14rocblas_pivot_15rocblas_direct_T2_S6_PT0_lS8_lT1_lS6_lS6_,comdat
.Lfunc_end4:
	.size	_ZN9rocsolver6v33100L11lasr_kernelIffPfiEEv13rocblas_side_14rocblas_pivot_15rocblas_direct_T2_S6_PT0_lS8_lT1_lS6_lS6_, .Lfunc_end4-_ZN9rocsolver6v33100L11lasr_kernelIffPfiEEv13rocblas_side_14rocblas_pivot_15rocblas_direct_T2_S6_PT0_lS8_lT1_lS6_lS6_
                                        ; -- End function
	.section	.AMDGPU.csdata,"",@progbits
; Kernel info:
; codeLenInByte = 4728
; NumSgprs: 89
; NumVgprs: 41
; ScratchSize: 0
; MemoryBound: 0
; FloatMode: 240
; IeeeMode: 1
; LDSByteSize: 0 bytes/workgroup (compile time only)
; SGPRBlocks: 11
; VGPRBlocks: 5
; NumSGPRsForWavesPerEU: 89
; NumVGPRsForWavesPerEU: 41
; Occupancy: 16
; WaveLimiterHint : 0
; COMPUTE_PGM_RSRC2:SCRATCH_EN: 0
; COMPUTE_PGM_RSRC2:USER_SGPR: 14
; COMPUTE_PGM_RSRC2:TRAP_HANDLER: 0
; COMPUTE_PGM_RSRC2:TGID_X_EN: 1
; COMPUTE_PGM_RSRC2:TGID_Y_EN: 0
; COMPUTE_PGM_RSRC2:TGID_Z_EN: 1
; COMPUTE_PGM_RSRC2:TIDIG_COMP_CNT: 0
	.section	.text._ZN9rocsolver6v33100L11swap_kernelIfiEEvT0_PT_S2_S4_S2_,"axG",@progbits,_ZN9rocsolver6v33100L11swap_kernelIfiEEvT0_PT_S2_S4_S2_,comdat
	.globl	_ZN9rocsolver6v33100L11swap_kernelIfiEEvT0_PT_S2_S4_S2_ ; -- Begin function _ZN9rocsolver6v33100L11swap_kernelIfiEEvT0_PT_S2_S4_S2_
	.p2align	8
	.type	_ZN9rocsolver6v33100L11swap_kernelIfiEEvT0_PT_S2_S4_S2_,@function
_ZN9rocsolver6v33100L11swap_kernelIfiEEvT0_PT_S2_S4_S2_: ; @_ZN9rocsolver6v33100L11swap_kernelIfiEEvT0_PT_S2_S4_S2_
; %bb.0:
	s_load_b32 s12, s[0:1], 0x0
	s_waitcnt lgkmcnt(0)
	s_cmp_lt_i32 s12, 1
	s_cbranch_scc1 .LBB5_10
; %bb.1:
	s_clause 0x5
	s_load_b32 s6, s[0:1], 0x34
	s_load_b32 s8, s[0:1], 0x10
	;; [unrolled: 1-line block ×4, first 2 shown]
	s_load_b64 s[2:3], s[0:1], 0x8
	s_load_b64 s[4:5], s[0:1], 0x18
	s_waitcnt lgkmcnt(0)
	s_and_b32 s0, s6, 0xffff
	s_cmp_eq_u32 s8, 1
	v_mad_u64_u32 v[1:2], null, s15, s0, v[0:1]
	s_cselect_b32 s1, -1, 0
	s_cmp_eq_u32 s9, 1
	s_mul_i32 s6, s7, s0
	s_cselect_b32 s10, -1, 0
	s_delay_alu instid0(SALU_CYCLE_1) | instskip(NEXT) | instid1(VALU_DEP_1)
	s_and_b32 s1, s1, s10
	v_cmp_gt_i32_e64 s0, s12, v1
	s_and_b32 vcc_lo, exec_lo, s1
	s_mov_b32 s1, -1
	s_cbranch_vccnz .LBB5_6
; %bb.2:
	s_delay_alu instid0(VALU_DEP_1)
	s_and_saveexec_b32 s7, s0
	s_cbranch_execz .LBB5_5
; %bb.3:
	v_mad_i64_i32 v[2:3], null, s9, v1, 0
	v_mad_i64_i32 v[4:5], null, s8, v1, 0
	v_mov_b32_e32 v0, v1
	s_mul_hi_i32 s11, s9, s6
	s_mul_i32 s10, s9, s6
	s_mul_hi_i32 s15, s8, s6
	s_delay_alu instid0(VALU_DEP_3) | instskip(SKIP_1) | instid1(VALU_DEP_3)
	v_lshlrev_b64 v[2:3], 2, v[2:3]
	s_mul_i32 s14, s8, s6
	v_lshlrev_b64 v[4:5], 2, v[4:5]
	s_lshl_b64 s[8:9], s[10:11], 2
	s_lshl_b64 s[10:11], s[14:15], 2
	s_mov_b32 s13, 0
	v_add_co_u32 v2, vcc_lo, s4, v2
	v_add_co_ci_u32_e32 v3, vcc_lo, s5, v3, vcc_lo
	v_add_co_u32 v4, vcc_lo, s2, v4
	v_add_co_ci_u32_e32 v5, vcc_lo, s3, v5, vcc_lo
	.p2align	6
.LBB5_4:                                ; =>This Inner Loop Header: Depth=1
	global_load_b32 v6, v[4:5], off
	global_load_b32 v7, v[2:3], off
	v_add_nc_u32_e32 v0, s6, v0
	s_waitcnt vmcnt(1)
	global_store_b32 v[2:3], v6, off
	s_waitcnt vmcnt(0)
	global_store_b32 v[4:5], v7, off
	v_add_co_u32 v2, s1, v2, s8
	s_delay_alu instid0(VALU_DEP_1) | instskip(SKIP_2) | instid1(VALU_DEP_1)
	v_add_co_ci_u32_e64 v3, s1, s9, v3, s1
	v_cmp_le_i32_e32 vcc_lo, s12, v0
	v_add_co_u32 v4, s1, v4, s10
	v_add_co_ci_u32_e64 v5, s1, s11, v5, s1
	s_or_b32 s13, vcc_lo, s13
	s_delay_alu instid0(SALU_CYCLE_1)
	s_and_not1_b32 exec_lo, exec_lo, s13
	s_cbranch_execnz .LBB5_4
.LBB5_5:
	s_or_b32 exec_lo, exec_lo, s7
	s_mov_b32 s1, 0
.LBB5_6:
	s_delay_alu instid0(SALU_CYCLE_1)
	s_and_not1_b32 vcc_lo, exec_lo, s1
	s_cbranch_vccnz .LBB5_10
; %bb.7:
	s_and_saveexec_b32 s1, s0
	s_cbranch_execz .LBB5_10
; %bb.8:
	v_ashrrev_i32_e32 v2, 31, v1
	s_ashr_i32 s7, s6, 31
	s_mov_b32 s1, 0
	s_lshl_b64 s[8:9], s[6:7], 2
	s_delay_alu instid0(VALU_DEP_1)
	v_lshlrev_b64 v[2:3], 2, v[1:2]
	.p2align	6
.LBB5_9:                                ; =>This Inner Loop Header: Depth=1
	s_delay_alu instid0(VALU_DEP_1) | instskip(NEXT) | instid1(VALU_DEP_2)
	v_add_co_u32 v4, vcc_lo, s2, v2
	v_add_co_ci_u32_e32 v5, vcc_lo, s3, v3, vcc_lo
	v_add_co_u32 v6, vcc_lo, s4, v2
	v_add_co_ci_u32_e32 v7, vcc_lo, s5, v3, vcc_lo
	v_add_nc_u32_e32 v1, s6, v1
	global_load_b32 v0, v[4:5], off
	global_load_b32 v8, v[6:7], off
	v_add_co_u32 v2, s0, v2, s8
	v_cmp_le_i32_e32 vcc_lo, s12, v1
	v_add_co_ci_u32_e64 v3, s0, s9, v3, s0
	s_waitcnt vmcnt(1)
	global_store_b32 v[6:7], v0, off
	s_waitcnt vmcnt(0)
	global_store_b32 v[4:5], v8, off
	s_or_b32 s1, vcc_lo, s1
	s_delay_alu instid0(SALU_CYCLE_1)
	s_and_not1_b32 exec_lo, exec_lo, s1
	s_cbranch_execnz .LBB5_9
.LBB5_10:
	s_nop 0
	s_sendmsg sendmsg(MSG_DEALLOC_VGPRS)
	s_endpgm
	.section	.rodata,"a",@progbits
	.p2align	6, 0x0
	.amdhsa_kernel _ZN9rocsolver6v33100L11swap_kernelIfiEEvT0_PT_S2_S4_S2_
		.amdhsa_group_segment_fixed_size 0
		.amdhsa_private_segment_fixed_size 0
		.amdhsa_kernarg_size 296
		.amdhsa_user_sgpr_count 15
		.amdhsa_user_sgpr_dispatch_ptr 0
		.amdhsa_user_sgpr_queue_ptr 0
		.amdhsa_user_sgpr_kernarg_segment_ptr 1
		.amdhsa_user_sgpr_dispatch_id 0
		.amdhsa_user_sgpr_private_segment_size 0
		.amdhsa_wavefront_size32 1
		.amdhsa_uses_dynamic_stack 0
		.amdhsa_enable_private_segment 0
		.amdhsa_system_sgpr_workgroup_id_x 1
		.amdhsa_system_sgpr_workgroup_id_y 0
		.amdhsa_system_sgpr_workgroup_id_z 0
		.amdhsa_system_sgpr_workgroup_info 0
		.amdhsa_system_vgpr_workitem_id 0
		.amdhsa_next_free_vgpr 9
		.amdhsa_next_free_sgpr 16
		.amdhsa_reserve_vcc 1
		.amdhsa_float_round_mode_32 0
		.amdhsa_float_round_mode_16_64 0
		.amdhsa_float_denorm_mode_32 3
		.amdhsa_float_denorm_mode_16_64 3
		.amdhsa_dx10_clamp 1
		.amdhsa_ieee_mode 1
		.amdhsa_fp16_overflow 0
		.amdhsa_workgroup_processor_mode 1
		.amdhsa_memory_ordered 1
		.amdhsa_forward_progress 0
		.amdhsa_shared_vgpr_count 0
		.amdhsa_exception_fp_ieee_invalid_op 0
		.amdhsa_exception_fp_denorm_src 0
		.amdhsa_exception_fp_ieee_div_zero 0
		.amdhsa_exception_fp_ieee_overflow 0
		.amdhsa_exception_fp_ieee_underflow 0
		.amdhsa_exception_fp_ieee_inexact 0
		.amdhsa_exception_int_div_zero 0
	.end_amdhsa_kernel
	.section	.text._ZN9rocsolver6v33100L11swap_kernelIfiEEvT0_PT_S2_S4_S2_,"axG",@progbits,_ZN9rocsolver6v33100L11swap_kernelIfiEEvT0_PT_S2_S4_S2_,comdat
.Lfunc_end5:
	.size	_ZN9rocsolver6v33100L11swap_kernelIfiEEvT0_PT_S2_S4_S2_, .Lfunc_end5-_ZN9rocsolver6v33100L11swap_kernelIfiEEvT0_PT_S2_S4_S2_
                                        ; -- End function
	.section	.AMDGPU.csdata,"",@progbits
; Kernel info:
; codeLenInByte = 520
; NumSgprs: 18
; NumVgprs: 9
; ScratchSize: 0
; MemoryBound: 0
; FloatMode: 240
; IeeeMode: 1
; LDSByteSize: 0 bytes/workgroup (compile time only)
; SGPRBlocks: 2
; VGPRBlocks: 1
; NumSGPRsForWavesPerEU: 18
; NumVGPRsForWavesPerEU: 9
; Occupancy: 16
; WaveLimiterHint : 0
; COMPUTE_PGM_RSRC2:SCRATCH_EN: 0
; COMPUTE_PGM_RSRC2:USER_SGPR: 15
; COMPUTE_PGM_RSRC2:TRAP_HANDLER: 0
; COMPUTE_PGM_RSRC2:TGID_X_EN: 1
; COMPUTE_PGM_RSRC2:TGID_Y_EN: 0
; COMPUTE_PGM_RSRC2:TGID_Z_EN: 0
; COMPUTE_PGM_RSRC2:TIDIG_COMP_CNT: 0
	.section	.text._ZN9rocsolver6v33100L12steqr_kernelIffPfEEviPT0_lS4_lT1_iilPiS4_iS3_S3_S3_,"axG",@progbits,_ZN9rocsolver6v33100L12steqr_kernelIffPfEEviPT0_lS4_lT1_iilPiS4_iS3_S3_S3_,comdat
	.globl	_ZN9rocsolver6v33100L12steqr_kernelIffPfEEviPT0_lS4_lT1_iilPiS4_iS3_S3_S3_ ; -- Begin function _ZN9rocsolver6v33100L12steqr_kernelIffPfEEviPT0_lS4_lT1_iilPiS4_iS3_S3_S3_
	.p2align	8
	.type	_ZN9rocsolver6v33100L12steqr_kernelIffPfEEviPT0_lS4_lT1_iilPiS4_iS3_S3_S3_,@function
_ZN9rocsolver6v33100L12steqr_kernelIffPfEEviPT0_lS4_lT1_iilPiS4_iS3_S3_S3_: ; @_ZN9rocsolver6v33100L12steqr_kernelIffPfEEviPT0_lS4_lT1_iilPiS4_iS3_S3_S3_
; %bb.0:
	s_clause 0x1
	s_load_b32 s2, s[0:1], 0x6c
	s_load_b32 s3, s[0:1], 0x60
	s_mov_b32 s28, s15
	s_waitcnt lgkmcnt(0)
	s_and_b32 s7, s2, 0xffff
	s_delay_alu instid0(SALU_CYCLE_1) | instskip(NEXT) | instid1(VALU_DEP_1)
	v_mad_u64_u32 v[1:2], null, s14, s7, v[0:1]
	v_cmp_eq_u32_e64 s2, 0, v1
	s_delay_alu instid0(VALU_DEP_1)
	s_and_saveexec_b32 s4, s2
	s_cbranch_execz .LBB6_2
; %bb.1:
	v_mov_b32_e32 v0, 0
	ds_store_2addr_b32 v0, v0, v0 offset0:3 offset1:7
.LBB6_2:
	s_or_b32 exec_lo, exec_lo, s4
	s_load_b256 s[16:23], s[0:1], 0x8
	v_mov_b32_e32 v0, 0
	s_load_b32 s6, s[0:1], 0x0
	s_waitcnt lgkmcnt(0)
	s_barrier
	buffer_gl0_inv
	ds_load_2addr_b32 v[2:3], v0 offset0:3 offset1:7
	s_clause 0x2
	s_load_b128 s[24:27], s[0:1], 0x50
	s_load_b256 s[8:15], s[0:1], 0x28
	s_load_b64 s[4:5], s[0:1], 0x48
	s_ashr_i32 s29, s28, 31
	s_mul_i32 s30, s3, s7
	s_mul_i32 s0, s28, s19
	s_mul_hi_u32 s1, s28, s18
	s_mul_i32 s3, s29, s18
	s_add_i32 s0, s1, s0
	s_mul_i32 s18, s28, s18
	s_add_i32 s19, s0, s3
	s_mul_i32 s7, s28, s23
	s_mul_hi_u32 s31, s28, s22
	s_mul_i32 s33, s29, s22
	s_mul_i32 s38, s28, s22
	s_lshl_b64 s[22:23], s[18:19], 2
	s_waitcnt lgkmcnt(0)
	v_cmp_gt_i32_e32 vcc_lo, s6, v2
	v_cmp_gt_i32_e64 s0, s24, v3
	s_add_u32 s18, s16, s22
	s_addc_u32 s19, s17, s23
	s_add_i32 s3, s31, s7
	s_mul_i32 s1, s28, s13
	s_add_i32 s39, s3, s33
	s_mul_hi_u32 s3, s28, s12
	v_readfirstlane_b32 s56, v2
	s_and_b32 s0, vcc_lo, s0
	s_add_i32 s1, s3, s1
	s_mul_i32 s3, s29, s12
	s_ashr_i32 s35, s10, 31
	s_mov_b32 s34, s10
	s_add_i32 s13, s1, s3
	s_mul_i32 s12, s28, s12
	s_and_not1_b32 vcc_lo, exec_lo, s0
	s_add_i32 s36, s6, -1
	s_cbranch_vccnz .LBB6_224
; %bb.3:
	s_lshl_b64 s[0:1], s[38:39], 2
	s_lshl_b32 s3, s6, 1
	s_add_u32 s10, s20, s0
	s_addc_u32 s33, s21, s1
	s_lshl_b64 s[0:1], s[12:13], 2
	s_lshl_b64 s[40:41], s[34:35], 2
	v_ashrrev_i32_e32 v2, 31, v1
	s_add_u32 s0, s0, s40
	s_addc_u32 s7, s1, s41
	s_add_u32 s68, s8, s0
	s_mul_hi_i32 s1, s3, s28
	s_mul_i32 s0, s3, s28
	s_addc_u32 s69, s9, s7
	s_lshl_b64 s[50:51], s[0:1], 2
	v_lshlrev_b64 v[2:3], 2, v[1:2]
	s_add_u32 s70, s4, s50
	s_addc_u32 s71, s5, s51
	s_ashr_i32 s7, s6, 31
	s_ashr_i32 s41, s11, 31
	s_add_u32 s42, s10, -4
	s_addc_u32 s43, s33, -1
	s_add_u32 s44, s70, -4
	s_addc_u32 s45, s71, -1
	s_add_u32 s72, s16, s22
	s_addc_u32 s73, s17, s23
	s_add_u32 s74, s72, 4
	s_addc_u32 s75, s73, 0
	s_ashr_i32 s31, s30, 31
	s_lshl_b64 s[46:47], s[6:7], 2
	s_lshl_b64 s[48:49], s[30:31], 2
	s_add_u32 s1, s50, s46
	s_addc_u32 s3, s51, s47
	s_add_u32 s1, s1, s4
	s_addc_u32 s3, s3, s5
	s_add_u32 s50, s1, -8
	s_mov_b32 s40, s11
	s_addc_u32 s51, s3, -1
	s_add_u32 s7, s46, -4
	s_addc_u32 s31, s47, -1
	s_lshl_b64 s[52:53], s[40:41], 2
	v_add_co_u32 v37, vcc_lo, s68, v2
	v_mul_f32_e64 v36, s25, s25
	v_cmp_gt_i32_e64 s0, s6, v1
	v_add_co_ci_u32_e32 v38, vcc_lo, s69, v3, vcc_lo
	s_sub_u32 s76, 0, s52
	s_subb_u32 s77, 0, s53
	s_mov_b32 s54, 0x667f3bcd
	s_add_u32 s78, s72, -4
	s_mov_b32 s55, 0x3ff6a09e
	s_addc_u32 s79, s73, -1
	s_mov_b32 s5, 0
                                        ; implicit-def: $vgpr6_vgpr7
                                        ; implicit-def: $vgpr8_vgpr9
                                        ; implicit-def: $vgpr10_vgpr11
                                        ; implicit-def: $vgpr2_vgpr3
                                        ; implicit-def: $vgpr39
                                        ; implicit-def: $vgpr4_vgpr5
                                        ; implicit-def: $vgpr40
                                        ; implicit-def: $vgpr12_vgpr13
                                        ; implicit-def: $vgpr14_vgpr15
	s_branch .LBB6_7
.LBB6_4:                                ;   in Loop: Header=BB6_7 Depth=1
	s_or_b32 exec_lo, exec_lo, s3
.LBB6_5:                                ;   in Loop: Header=BB6_7 Depth=1
	s_waitcnt_vscnt null, 0x0
	s_barrier
	buffer_gl0_inv
.LBB6_6:                                ;   in Loop: Header=BB6_7 Depth=1
	ds_load_2addr_b32 v[12:13], v0 offset0:3 offset1:7
	v_mov_b32_e32 v14, v22
	v_dual_mov_b32 v40, v17 :: v_dual_mov_b32 v15, v23
	s_waitcnt lgkmcnt(0)
	v_cmp_gt_i32_e32 vcc_lo, s6, v12
	v_cmp_gt_i32_e64 s1, s24, v13
	v_readfirstlane_b32 s56, v12
	v_dual_mov_b32 v12, v20 :: v_dual_mov_b32 v13, v21
	s_delay_alu instid0(VALU_DEP_3) | instskip(NEXT) | instid1(SALU_CYCLE_1)
	s_and_b32 s1, vcc_lo, s1
	s_and_not1_b32 vcc_lo, exec_lo, s1
	s_cbranch_vccnz .LBB6_224
.LBB6_7:                                ; =>This Loop Header: Depth=1
                                        ;     Child Loop BB6_15 Depth 2
                                        ;     Child Loop BB6_28 Depth 2
	;; [unrolled: 1-line block ×5, first 2 shown]
                                        ;       Child Loop BB6_61 Depth 3
                                        ;       Child Loop BB6_80 Depth 3
	;; [unrolled: 1-line block ×3, first 2 shown]
                                        ;         Child Loop BB6_127 Depth 4
                                        ;     Child Loop BB6_133 Depth 2
                                        ;       Child Loop BB6_142 Depth 3
                                        ;       Child Loop BB6_161 Depth 3
	;; [unrolled: 1-line block ×3, first 2 shown]
                                        ;         Child Loop BB6_208 Depth 4
                                        ;     Child Loop BB6_216 Depth 2
                                        ;     Child Loop BB6_223 Depth 2
	s_and_saveexec_b32 s4, s2
	s_cbranch_execz .LBB6_31
; %bb.8:                                ;   in Loop: Header=BB6_7 Depth=1
	s_cmp_lt_i32 s56, 1
	s_cbranch_scc1 .LBB6_10
; %bb.9:                                ;   in Loop: Header=BB6_7 Depth=1
	s_mov_b32 s57, s5
	s_delay_alu instid0(SALU_CYCLE_1) | instskip(NEXT) | instid1(SALU_CYCLE_1)
	s_lshl_b64 s[58:59], s[56:57], 2
	s_add_u32 s58, s42, s58
	s_addc_u32 s59, s43, s59
	global_store_b32 v0, v0, s[58:59]
.LBB6_10:                               ;   in Loop: Header=BB6_7 Depth=1
	s_mov_b32 s3, -1
	s_mov_b32 s1, 0
	s_cmp_lt_i32 s56, s36
	s_mov_b32 s80, 0
	s_cbranch_scc1 .LBB6_12
; %bb.11:                               ;   in Loop: Header=BB6_7 Depth=1
	s_ashr_i32 s57, s56, 31
	s_mov_b32 s3, 0
	s_mov_b32 s80, -1
.LBB6_12:                               ;   in Loop: Header=BB6_7 Depth=1
	s_and_not1_b32 vcc_lo, exec_lo, s3
	s_cbranch_vccnz .LBB6_17
; %bb.13:                               ;   in Loop: Header=BB6_7 Depth=1
	s_ashr_i32 s57, s56, 31
	s_delay_alu instid0(SALU_CYCLE_1)
	s_lshl_b64 s[58:59], s[56:57], 2
	s_mov_b64 s[62:63], s[56:57]
	s_add_u32 s66, s10, s58
	s_addc_u32 s67, s33, s59
	s_add_u32 s60, s74, s58
	s_addc_u32 s61, s75, s59
	s_branch .LBB6_15
.LBB6_14:                               ;   in Loop: Header=BB6_15 Depth=2
	s_and_not1_b32 vcc_lo, exec_lo, s3
	s_cbranch_vccz .LBB6_18
.LBB6_15:                               ;   Parent Loop BB6_7 Depth=1
                                        ; =>  This Inner Loop Header: Depth=2
	s_clause 0x1
	global_load_b64 v[6:7], v0, s[60:61] offset:-4
	global_load_b32 v8, v0, s[66:67]
	s_mov_b64 s[58:59], s[66:67]
	s_mov_b64 s[64:65], s[62:63]
                                        ; implicit-def: $sgpr62_sgpr63
                                        ; implicit-def: $sgpr66_sgpr67
	s_waitcnt vmcnt(1)
	v_mul_f32_e64 v9, 0x4f800000, |v6|
	v_cmp_gt_f32_e64 vcc_lo, 0xf800000, |v6|
	v_mul_f32_e64 v10, 0x4f800000, |v7|
	v_cmp_gt_f32_e64 s1, 0xf800000, |v7|
	s_delay_alu instid0(VALU_DEP_3) | instskip(NEXT) | instid1(VALU_DEP_2)
	v_cndmask_b32_e64 v6, |v6|, v9, vcc_lo
	v_cndmask_b32_e64 v7, |v7|, v10, s1
	s_delay_alu instid0(VALU_DEP_2) | instskip(NEXT) | instid1(VALU_DEP_1)
	v_sqrt_f32_e32 v9, v6
	v_sqrt_f32_e32 v10, v7
	s_waitcnt_depctr 0xfff
	v_add_nc_u32_e32 v11, -1, v9
	v_add_nc_u32_e32 v17, 1, v9
	v_add_nc_u32_e32 v16, -1, v10
	v_add_nc_u32_e32 v18, 1, v10
	s_delay_alu instid0(VALU_DEP_4) | instskip(NEXT) | instid1(VALU_DEP_4)
	v_fma_f32 v19, -v11, v9, v6
	v_fma_f32 v21, -v17, v9, v6
	s_delay_alu instid0(VALU_DEP_4) | instskip(NEXT) | instid1(VALU_DEP_4)
	v_fma_f32 v20, -v16, v10, v7
	v_fma_f32 v22, -v18, v10, v7
	s_delay_alu instid0(VALU_DEP_4) | instskip(NEXT) | instid1(VALU_DEP_1)
	v_cmp_ge_f32_e64 s3, 0, v19
	v_cndmask_b32_e64 v9, v9, v11, s3
	s_delay_alu instid0(VALU_DEP_4) | instskip(NEXT) | instid1(VALU_DEP_1)
	v_cmp_ge_f32_e64 s3, 0, v20
	v_cndmask_b32_e64 v10, v10, v16, s3
	v_cmp_lt_f32_e64 s3, 0, v21
	s_delay_alu instid0(VALU_DEP_1) | instskip(SKIP_1) | instid1(VALU_DEP_2)
	v_cndmask_b32_e64 v9, v9, v17, s3
	v_cmp_lt_f32_e64 s3, 0, v22
	v_mul_f32_e32 v11, 0x37800000, v9
	s_delay_alu instid0(VALU_DEP_1) | instskip(NEXT) | instid1(VALU_DEP_3)
	v_cndmask_b32_e32 v9, v9, v11, vcc_lo
	v_cndmask_b32_e64 v10, v10, v18, s3
	v_cmp_class_f32_e64 vcc_lo, v6, 0x260
	s_delay_alu instid0(VALU_DEP_2) | instskip(NEXT) | instid1(VALU_DEP_4)
	v_mul_f32_e32 v16, 0x37800000, v10
	v_cndmask_b32_e32 v6, v9, v6, vcc_lo
	v_cmp_class_f32_e64 vcc_lo, v7, 0x260
	s_delay_alu instid0(VALU_DEP_3) | instskip(SKIP_1) | instid1(VALU_DEP_1)
	v_cndmask_b32_e64 v10, v10, v16, s1
	s_mov_b32 s1, -1
	v_cndmask_b32_e32 v7, v10, v7, vcc_lo
	s_delay_alu instid0(VALU_DEP_1) | instskip(NEXT) | instid1(VALU_DEP_1)
	v_mul_f32_e32 v6, v6, v7
	v_mul_f32_e32 v6, s25, v6
	s_waitcnt vmcnt(0)
	s_delay_alu instid0(VALU_DEP_1) | instskip(NEXT) | instid1(VALU_DEP_1)
	v_cmp_nle_f32_e64 s3, |v8|, v6
	s_and_b32 vcc_lo, exec_lo, s3
	s_mov_b32 s3, -1
	s_cbranch_vccz .LBB6_14
; %bb.16:                               ;   in Loop: Header=BB6_15 Depth=2
	s_add_u32 s62, s64, 1
	s_addc_u32 s63, s65, 0
	s_add_u32 s66, s58, 4
	s_addc_u32 s67, s59, 0
	;; [unrolled: 2-line block ×3, first 2 shown]
	s_cmp_ge_i32 s62, s36
	s_mov_b32 s1, 0
	s_cselect_b32 s3, -1, 0
	s_branch .LBB6_14
.LBB6_17:                               ;   in Loop: Header=BB6_7 Depth=1
	s_mov_b32 s3, s56
	s_mov_b64 s[60:61], s[56:57]
	s_and_b32 vcc_lo, exec_lo, s80
	s_cbranch_vccnz .LBB6_21
	s_branch .LBB6_22
.LBB6_18:                               ;   in Loop: Header=BB6_7 Depth=1
	s_xor_b32 s1, s1, -1
                                        ; implicit-def: $sgpr60_sgpr61
	s_delay_alu instid0(SALU_CYCLE_1)
	s_and_b32 vcc_lo, exec_lo, s1
	s_mov_b32 s1, -1
	s_cbranch_vccz .LBB6_20
; %bb.19:                               ;   in Loop: Header=BB6_7 Depth=1
	s_ashr_i32 s37, s36, 31
	s_mov_b32 s80, -1
	s_mov_b32 s1, 0
	s_mov_b64 s[60:61], s[36:37]
.LBB6_20:                               ;   in Loop: Header=BB6_7 Depth=1
	v_dual_mov_b32 v6, s64 :: v_dual_mov_b32 v7, s65
	v_dual_mov_b32 v8, s58 :: v_dual_mov_b32 v9, s59
	;; [unrolled: 1-line block ×3, first 2 shown]
	s_mov_b32 s3, s36
	s_and_b32 vcc_lo, exec_lo, s80
	s_cbranch_vccz .LBB6_22
.LBB6_21:                               ;   in Loop: Header=BB6_7 Depth=1
	v_mov_b32_e32 v16, s3
	ds_store_b32 v0, v16 offset:4
.LBB6_22:                               ;   in Loop: Header=BB6_7 Depth=1
	v_dual_mov_b32 v16, s56 :: v_dual_mov_b32 v17, s57
	v_dual_mov_b32 v18, s60 :: v_dual_mov_b32 v19, s61
	v_mov_b32_e32 v20, s3
	s_and_not1_b32 vcc_lo, exec_lo, s1
	s_cbranch_vccnz .LBB6_24
; %bb.23:                               ;   in Loop: Header=BB6_7 Depth=1
	v_dual_mov_b32 v17, v11 :: v_dual_mov_b32 v16, v10
	v_dual_mov_b32 v19, v7 :: v_dual_mov_b32 v18, v6
	v_mov_b32_e32 v20, v6
	ds_store_b32 v0, v6 offset:4
	global_store_b32 v[8:9], v0, off
.LBB6_24:                               ;   in Loop: Header=BB6_7 Depth=1
	s_delay_alu instid0(VALU_DEP_2) | instskip(SKIP_3) | instid1(VALU_DEP_3)
	v_lshlrev_b64 v[21:22], 2, v[18:19]
	v_lshlrev_b64 v[18:19], 2, v[16:17]
	v_mov_b32_e32 v23, s56
	s_mov_b32 s1, exec_lo
	v_add_co_u32 v16, vcc_lo, s18, v21
	s_delay_alu instid0(VALU_DEP_4) | instskip(NEXT) | instid1(VALU_DEP_4)
	v_add_co_ci_u32_e32 v17, vcc_lo, s19, v22, vcc_lo
	v_add_co_u32 v21, vcc_lo, s18, v18
	v_add_co_ci_u32_e32 v22, vcc_lo, s19, v19, vcc_lo
	s_clause 0x1
	global_load_b32 v16, v[16:17], off
	global_load_b32 v17, v[21:22], off
	v_dual_mov_b32 v21, s56 :: v_dual_add_nc_u32 v22, 1, v20
	ds_store_2addr_b32 v0, v21, v20 offset1:5
	ds_store_b32 v0, v20 offset:32
	ds_store_2addr_b32 v0, v22, v23 offset0:3 offset1:4
	s_waitcnt vmcnt(0)
	v_cmpx_lt_f32_e64 |v16|, |v17|
	s_cbranch_execz .LBB6_26
; %bb.25:                               ;   in Loop: Header=BB6_7 Depth=1
	v_mov_b32_e32 v17, s56
	ds_store_2addr_b32 v0, v20, v17 offset1:5
.LBB6_26:                               ;   in Loop: Header=BB6_7 Depth=1
	s_or_b32 exec_lo, exec_lo, s1
	v_and_b32_e32 v21, 0x7fffffff, v16
	s_mov_b32 s3, exec_lo
	v_cmpx_lt_i32_e64 s56, v20
	s_cbranch_execz .LBB6_30
; %bb.27:                               ;   in Loop: Header=BB6_7 Depth=1
	v_add_co_u32 v16, vcc_lo, s72, v18
	v_add_co_ci_u32_e32 v17, vcc_lo, s73, v19, vcc_lo
	v_add_co_u32 v18, vcc_lo, s10, v18
	v_add_co_ci_u32_e32 v19, vcc_lo, s33, v19, vcc_lo
	s_mov_b32 s37, 0
	.p2align	6
.LBB6_28:                               ;   Parent Loop BB6_7 Depth=1
                                        ; =>  This Inner Loop Header: Depth=2
	global_load_b32 v22, v[16:17], off
	global_load_b32 v23, v[18:19], off
	v_add_co_u32 v16, vcc_lo, v16, 4
	s_add_i32 s56, s56, 1
	v_add_co_ci_u32_e32 v17, vcc_lo, 0, v17, vcc_lo
	v_add_co_u32 v18, vcc_lo, v18, 4
	v_cmp_ge_i32_e64 s1, s56, v20
	v_add_co_ci_u32_e32 v19, vcc_lo, 0, v19, vcc_lo
	s_delay_alu instid0(VALU_DEP_2)
	s_or_b32 s37, s1, s37
	s_waitcnt vmcnt(0)
	v_max3_f32 v21, v21, |v22|, |v23|
	s_and_not1_b32 exec_lo, exec_lo, s37
	s_cbranch_execnz .LBB6_28
; %bb.29:                               ;   in Loop: Header=BB6_7 Depth=1
	s_or_b32 exec_lo, exec_lo, s37
.LBB6_30:                               ;   in Loop: Header=BB6_7 Depth=1
	s_delay_alu instid0(SALU_CYCLE_1)
	s_or_b32 exec_lo, exec_lo, s3
	ds_store_b32 v0, v21 offset:24
.LBB6_31:                               ;   in Loop: Header=BB6_7 Depth=1
	s_or_b32 exec_lo, exec_lo, s4
	s_waitcnt lgkmcnt(0)
	s_waitcnt_vscnt null, 0x0
	s_barrier
	buffer_gl0_inv
	ds_load_2addr_b32 v[16:17], v0 offset0:5 offset1:6
	ds_load_b32 v18, v0
	s_waitcnt lgkmcnt(1)
	v_cmp_eq_f32_e64 s1, 0, v17
	s_waitcnt lgkmcnt(0)
	v_cmp_eq_u32_e32 vcc_lo, v16, v18
	s_delay_alu instid0(VALU_DEP_2) | instskip(NEXT) | instid1(SALU_CYCLE_1)
	s_or_b32 s1, vcc_lo, s1
	s_and_b32 vcc_lo, exec_lo, s1
	s_cbranch_vccnz .LBB6_129
; %bb.32:                               ;   in Loop: Header=BB6_7 Depth=1
	v_cmp_nlt_f32_e32 vcc_lo, s27, v17
	s_mov_b32 s1, -1
	s_cbranch_vccz .LBB6_41
; %bb.33:                               ;   in Loop: Header=BB6_7 Depth=1
	v_cmp_ngt_f32_e32 vcc_lo, s26, v17
	s_cbranch_vccnz .LBB6_40
; %bb.34:                               ;   in Loop: Header=BB6_7 Depth=1
	v_div_scale_f32 v16, null, s26, s26, v17
	v_div_scale_f32 v21, vcc_lo, v17, s26, v17
	s_delay_alu instid0(VALU_DEP_2) | instskip(SKIP_2) | instid1(VALU_DEP_1)
	v_rcp_f32_e32 v20, v16
	s_waitcnt_depctr 0xfff
	v_fma_f32 v18, -v16, v20, 1.0
	v_fmac_f32_e32 v20, v18, v20
	ds_load_2addr_b32 v[18:19], v0 offset0:4 offset1:8
	v_mul_f32_e32 v22, v21, v20
	s_delay_alu instid0(VALU_DEP_1) | instskip(NEXT) | instid1(VALU_DEP_1)
	v_fma_f32 v23, -v16, v22, v21
	v_fmac_f32_e32 v22, v23, v20
	s_delay_alu instid0(VALU_DEP_1) | instskip(NEXT) | instid1(VALU_DEP_1)
	v_fma_f32 v16, -v16, v22, v21
	v_div_fmas_f32 v16, v16, v20, v22
	s_delay_alu instid0(VALU_DEP_1)
	v_div_fixup_f32 v16, v16, s26, v17
	s_and_saveexec_b32 s1, s2
	s_cbranch_execz .LBB6_36
; %bb.35:                               ;   in Loop: Header=BB6_7 Depth=1
	s_waitcnt lgkmcnt(0)
	v_ashrrev_i32_e32 v21, 31, v19
	v_mov_b32_e32 v20, v19
	s_delay_alu instid0(VALU_DEP_1) | instskip(NEXT) | instid1(VALU_DEP_1)
	v_lshlrev_b64 v[20:21], 2, v[20:21]
	v_add_co_u32 v20, vcc_lo, s18, v20
	s_delay_alu instid0(VALU_DEP_2)
	v_add_co_ci_u32_e32 v21, vcc_lo, s19, v21, vcc_lo
	global_load_b32 v22, v[20:21], off
	s_waitcnt vmcnt(0)
	v_mul_f32_e32 v22, v16, v22
	global_store_b32 v[20:21], v22, off
.LBB6_36:                               ;   in Loop: Header=BB6_7 Depth=1
	s_or_b32 exec_lo, exec_lo, s1
	s_waitcnt lgkmcnt(0)
	v_add_nc_u32_e32 v20, v18, v1
	s_mov_b32 s3, exec_lo
	s_delay_alu instid0(VALU_DEP_1)
	v_cmpx_lt_i32_e64 v20, v19
	s_cbranch_execz .LBB6_39
; %bb.37:                               ;   in Loop: Header=BB6_7 Depth=1
	v_ashrrev_i32_e32 v21, 31, v20
	s_mov_b32 s4, 0
	s_delay_alu instid0(VALU_DEP_1)
	v_lshlrev_b64 v[21:22], 2, v[20:21]
	.p2align	6
.LBB6_38:                               ;   Parent Loop BB6_7 Depth=1
                                        ; =>  This Inner Loop Header: Depth=2
	s_delay_alu instid0(VALU_DEP_1) | instskip(NEXT) | instid1(VALU_DEP_2)
	v_add_co_u32 v23, vcc_lo, s18, v21
	v_add_co_ci_u32_e32 v24, vcc_lo, s19, v22, vcc_lo
	v_add_co_u32 v25, vcc_lo, s10, v21
	v_add_co_ci_u32_e32 v26, vcc_lo, s33, v22, vcc_lo
	global_load_b32 v18, v[23:24], off
	v_add_nc_u32_e32 v20, s30, v20
	v_add_co_u32 v21, vcc_lo, v21, s48
	v_add_co_ci_u32_e32 v22, vcc_lo, s49, v22, vcc_lo
	s_delay_alu instid0(VALU_DEP_3) | instskip(NEXT) | instid1(VALU_DEP_1)
	v_cmp_ge_i32_e64 s1, v20, v19
	s_or_b32 s4, s1, s4
	s_waitcnt vmcnt(0)
	v_mul_f32_e32 v18, v16, v18
	global_store_b32 v[23:24], v18, off
	global_load_b32 v18, v[25:26], off
	s_waitcnt vmcnt(0)
	v_mul_f32_e32 v18, v16, v18
	global_store_b32 v[25:26], v18, off
	s_and_not1_b32 exec_lo, exec_lo, s4
	s_cbranch_execnz .LBB6_38
.LBB6_39:                               ;   in Loop: Header=BB6_7 Depth=1
	s_or_b32 exec_lo, exec_lo, s3
.LBB6_40:                               ;   in Loop: Header=BB6_7 Depth=1
	s_mov_b32 s1, 0
.LBB6_41:                               ;   in Loop: Header=BB6_7 Depth=1
	s_delay_alu instid0(SALU_CYCLE_1)
	s_and_not1_b32 vcc_lo, exec_lo, s1
	s_cbranch_vccnz .LBB6_48
; %bb.42:                               ;   in Loop: Header=BB6_7 Depth=1
	v_div_scale_f32 v16, null, s27, s27, v17
	v_div_scale_f32 v21, vcc_lo, v17, s27, v17
	s_delay_alu instid0(VALU_DEP_2) | instskip(SKIP_2) | instid1(VALU_DEP_1)
	v_rcp_f32_e32 v20, v16
	s_waitcnt_depctr 0xfff
	v_fma_f32 v18, -v16, v20, 1.0
	v_fmac_f32_e32 v20, v18, v20
	ds_load_2addr_b32 v[18:19], v0 offset0:4 offset1:8
	v_mul_f32_e32 v22, v21, v20
	s_delay_alu instid0(VALU_DEP_1) | instskip(NEXT) | instid1(VALU_DEP_1)
	v_fma_f32 v23, -v16, v22, v21
	v_fmac_f32_e32 v22, v23, v20
	s_delay_alu instid0(VALU_DEP_1) | instskip(NEXT) | instid1(VALU_DEP_1)
	v_fma_f32 v16, -v16, v22, v21
	v_div_fmas_f32 v16, v16, v20, v22
	s_delay_alu instid0(VALU_DEP_1)
	v_div_fixup_f32 v20, v16, s27, v17
	s_and_saveexec_b32 s1, s2
	s_cbranch_execz .LBB6_44
; %bb.43:                               ;   in Loop: Header=BB6_7 Depth=1
	s_waitcnt lgkmcnt(0)
	v_ashrrev_i32_e32 v17, 31, v19
	v_mov_b32_e32 v16, v19
	s_delay_alu instid0(VALU_DEP_1) | instskip(NEXT) | instid1(VALU_DEP_1)
	v_lshlrev_b64 v[16:17], 2, v[16:17]
	v_add_co_u32 v16, vcc_lo, s18, v16
	s_delay_alu instid0(VALU_DEP_2)
	v_add_co_ci_u32_e32 v17, vcc_lo, s19, v17, vcc_lo
	global_load_b32 v21, v[16:17], off
	s_waitcnt vmcnt(0)
	v_mul_f32_e32 v21, v20, v21
	global_store_b32 v[16:17], v21, off
.LBB6_44:                               ;   in Loop: Header=BB6_7 Depth=1
	s_or_b32 exec_lo, exec_lo, s1
	s_waitcnt lgkmcnt(0)
	v_add_nc_u32_e32 v16, v18, v1
	s_mov_b32 s3, exec_lo
	s_delay_alu instid0(VALU_DEP_1)
	v_cmpx_lt_i32_e64 v16, v19
	s_cbranch_execz .LBB6_47
; %bb.45:                               ;   in Loop: Header=BB6_7 Depth=1
	v_ashrrev_i32_e32 v17, 31, v16
	s_mov_b32 s4, 0
	s_delay_alu instid0(VALU_DEP_1)
	v_lshlrev_b64 v[17:18], 2, v[16:17]
	.p2align	6
.LBB6_46:                               ;   Parent Loop BB6_7 Depth=1
                                        ; =>  This Inner Loop Header: Depth=2
	s_delay_alu instid0(VALU_DEP_1) | instskip(NEXT) | instid1(VALU_DEP_2)
	v_add_co_u32 v21, vcc_lo, s18, v17
	v_add_co_ci_u32_e32 v22, vcc_lo, s19, v18, vcc_lo
	v_add_co_u32 v23, vcc_lo, s10, v17
	global_load_b32 v24, v[21:22], off
	s_waitcnt vmcnt(0)
	v_mul_f32_e32 v25, v20, v24
	v_add_co_ci_u32_e32 v24, vcc_lo, s33, v18, vcc_lo
	v_add_co_u32 v17, vcc_lo, v17, s48
	global_store_b32 v[21:22], v25, off
	global_load_b32 v21, v[23:24], off
	v_add_nc_u32_e32 v16, s30, v16
	v_add_co_ci_u32_e32 v18, vcc_lo, s49, v18, vcc_lo
	s_waitcnt vmcnt(0)
	v_mul_f32_e32 v21, v20, v21
	s_delay_alu instid0(VALU_DEP_3) | instskip(SKIP_2) | instid1(SALU_CYCLE_1)
	v_cmp_ge_i32_e64 s1, v16, v19
	global_store_b32 v[23:24], v21, off
	s_or_b32 s4, s1, s4
	s_and_not1_b32 exec_lo, exec_lo, s4
	s_cbranch_execnz .LBB6_46
.LBB6_47:                               ;   in Loop: Header=BB6_7 Depth=1
	s_or_b32 exec_lo, exec_lo, s3
.LBB6_48:                               ;   in Loop: Header=BB6_7 Depth=1
	s_waitcnt_vscnt null, 0x0
	s_barrier
	buffer_gl0_inv
	ds_load_b32 v19, v0 offset:28
	ds_load_2addr_b32 v[16:17], v0 offset1:5
	s_waitcnt lgkmcnt(1)
	v_cmp_gt_i32_e64 s1, s24, v19
	s_waitcnt lgkmcnt(0)
	v_cmp_lt_i32_e32 vcc_lo, v17, v16
	v_mov_b32_e32 v18, v17
	s_delay_alu instid0(VALU_DEP_3) | instskip(NEXT) | instid1(VALU_DEP_1)
	v_cndmask_b32_e64 v20, 0, 1, s1
	v_cmp_ne_u32_e64 s3, 1, v20
	s_cbranch_vccnz .LBB6_130
; %bb.49:                               ;   in Loop: Header=BB6_7 Depth=1
	v_dual_mov_b32 v23, v15 :: v_dual_mov_b32 v22, v14
	v_dual_mov_b32 v21, v13 :: v_dual_mov_b32 v20, v12
	;; [unrolled: 1-line block ×4, first 2 shown]
	s_and_b32 vcc_lo, exec_lo, s3
	s_cbranch_vccz .LBB6_53
.LBB6_50:                               ;   in Loop: Header=BB6_7 Depth=1
	s_cbranch_execz .LBB6_133
	s_branch .LBB6_211
.LBB6_51:                               ;   in Loop: Header=BB6_53 Depth=2
	s_or_b32 exec_lo, exec_lo, s37
	s_waitcnt_vscnt null, 0x0
	s_barrier
	buffer_gl0_inv
	ds_load_b32 v24, v0
.LBB6_52:                               ;   in Loop: Header=BB6_53 Depth=2
	ds_load_2addr_b32 v[30:31], v0 offset0:5 offset1:7
	s_waitcnt lgkmcnt(0)
	v_cmp_le_i32_e32 vcc_lo, v24, v30
	v_cmp_gt_i32_e64 s3, s24, v31
	s_delay_alu instid0(VALU_DEP_1) | instskip(NEXT) | instid1(SALU_CYCLE_1)
	s_and_b32 s3, vcc_lo, s3
	s_and_not1_b32 vcc_lo, exec_lo, s3
	s_cbranch_vccnz .LBB6_50
.LBB6_53:                               ;   Parent Loop BB6_7 Depth=1
                                        ; =>  This Loop Header: Depth=2
                                        ;       Child Loop BB6_61 Depth 3
                                        ;       Child Loop BB6_80 Depth 3
	;; [unrolled: 1-line block ×3, first 2 shown]
                                        ;         Child Loop BB6_127 Depth 4
	s_and_saveexec_b32 s37, s2
	s_cbranch_execz .LBB6_122
; %bb.54:                               ;   in Loop: Header=BB6_53 Depth=2
	v_cmp_lt_i32_e32 vcc_lo, v24, v30
	s_mov_b32 s3, 0
	s_cbranch_vccnz .LBB6_58
; %bb.55:                               ;   in Loop: Header=BB6_53 Depth=2
	v_ashrrev_i32_e32 v25, 31, v24
	s_mov_b32 s4, -1
	s_delay_alu instid0(VALU_DEP_1)
	v_mov_b32_e32 v26, v25
	v_mov_b32_e32 v25, v24
	;; [unrolled: 1-line block ×3, first 2 shown]
	s_cbranch_execz .LBB6_59
; %bb.56:                               ;   in Loop: Header=BB6_53 Depth=2
	s_and_b32 vcc_lo, exec_lo, s4
	s_cbranch_vccz .LBB6_64
.LBB6_57:                               ;   in Loop: Header=BB6_53 Depth=2
	ds_store_2addr_b32 v0, v27, v24 offset0:1 offset1:4
	s_cbranch_execz .LBB6_65
	s_branch .LBB6_66
.LBB6_58:                               ;   in Loop: Header=BB6_53 Depth=2
	s_mov_b32 s4, 0
                                        ; implicit-def: $vgpr25_vgpr26
	v_mov_b32_e32 v27, v24
.LBB6_59:                               ;   in Loop: Header=BB6_53 Depth=2
	v_ashrrev_i32_e32 v25, 31, v24
	v_mov_b32_e32 v28, v24
	s_delay_alu instid0(VALU_DEP_2) | instskip(NEXT) | instid1(VALU_DEP_1)
	v_lshlrev_b64 v[20:21], 2, v[24:25]
	v_add_co_u32 v26, vcc_lo, s10, v20
	s_delay_alu instid0(VALU_DEP_2)
	v_add_co_ci_u32_e32 v27, vcc_lo, s33, v21, vcc_lo
	v_add_co_u32 v22, vcc_lo, s72, v20
	v_add_co_ci_u32_e32 v23, vcc_lo, s73, v21, vcc_lo
	s_branch .LBB6_61
	.p2align	6
.LBB6_60:                               ;   in Loop: Header=BB6_61 Depth=3
	s_delay_alu instid0(VALU_DEP_1)
	v_add_nc_u32_e32 v28, 1, v17
	v_add_co_u32 v26, vcc_lo, v20, 4
	v_add_co_ci_u32_e32 v27, vcc_lo, 0, v21, vcc_lo
	v_add_co_u32 v22, vcc_lo, v22, 4
	v_add_co_ci_u32_e32 v23, vcc_lo, 0, v23, vcc_lo
	v_cmp_ge_i32_e64 s4, v28, v30
	s_mov_b32 s3, 0
	s_delay_alu instid0(VALU_DEP_1)
	s_and_not1_b32 vcc_lo, exec_lo, s4
	s_cbranch_vccz .LBB6_63
.LBB6_61:                               ;   Parent Loop BB6_7 Depth=1
                                        ;     Parent Loop BB6_53 Depth=2
                                        ; =>    This Inner Loop Header: Depth=3
	s_delay_alu instid0(VALU_DEP_3) | instskip(SKIP_4) | instid1(VALU_DEP_1)
	v_dual_mov_b32 v20, v26 :: v_dual_mov_b32 v21, v27
	global_load_b64 v[26:27], v[22:23], off
	global_load_b32 v17, v[20:21], off
	s_waitcnt vmcnt(0)
	v_dual_mul_f32 v26, v26, v27 :: v_dual_mul_f32 v17, v17, v17
	v_mul_f32_e64 v26, v36, |v26|
	s_delay_alu instid0(VALU_DEP_1) | instskip(SKIP_1) | instid1(VALU_DEP_2)
	v_cmp_le_f32_e64 s3, |v17|, v26
	v_mov_b32_e32 v17, v28
	s_and_b32 vcc_lo, exec_lo, s3
	s_cbranch_vccz .LBB6_60
; %bb.62:                               ;   in Loop: Header=BB6_53 Depth=2
	s_mov_b32 s3, -1
                                        ; implicit-def: $vgpr28
                                        ; implicit-def: $vgpr26_vgpr27
                                        ; implicit-def: $vgpr22_vgpr23
.LBB6_63:                               ;   in Loop: Header=BB6_53 Depth=2
	v_dual_mov_b32 v22, v24 :: v_dual_mov_b32 v23, v25
	v_dual_mov_b32 v27, v30 :: v_dual_mov_b32 v26, v25
	v_mov_b32_e32 v25, v24
	s_xor_b32 s4, s3, -1
	s_mov_b32 s3, -1
	s_and_b32 vcc_lo, exec_lo, s4
	s_cbranch_vccnz .LBB6_57
.LBB6_64:                               ;   in Loop: Header=BB6_53 Depth=2
                                        ; implicit-def: $vgpr27
                                        ; implicit-def: $vgpr25_vgpr26
	s_and_not1_b32 vcc_lo, exec_lo, s3
	s_cbranch_vccnz .LBB6_66
.LBB6_65:                               ;   in Loop: Header=BB6_53 Depth=2
	v_dual_mov_b32 v26, v23 :: v_dual_mov_b32 v25, v22
	v_mov_b32_e32 v27, v17
	ds_store_2addr_b32 v0, v17, v24 offset0:1 offset1:4
	global_store_b32 v[20:21], v0, off
.LBB6_66:                               ;   in Loop: Header=BB6_53 Depth=2
	v_lshlrev_b64 v[29:30], 2, v[25:26]
	v_add_nc_u32_e32 v28, 1, v24
	s_mov_b32 s3, exec_lo
	s_delay_alu instid0(VALU_DEP_2) | instskip(NEXT) | instid1(VALU_DEP_3)
	v_add_co_u32 v25, vcc_lo, s18, v29
	v_add_co_ci_u32_e32 v26, vcc_lo, s19, v30, vcc_lo
	global_load_b32 v41, v[25:26], off
	s_waitcnt vmcnt(0)
	ds_store_b32 v0, v41 offset:8
	v_cmpx_ne_u32_e64 v27, v24
	s_xor_b32 s64, exec_lo, s3
	s_cbranch_execz .LBB6_119
; %bb.67:                               ;   in Loop: Header=BB6_53 Depth=2
	s_mov_b32 s3, exec_lo
	v_cmpx_ne_u32_e64 v27, v28
	s_xor_b32 s4, exec_lo, s3
	s_cbranch_execz .LBB6_95
; %bb.68:                               ;   in Loop: Header=BB6_53 Depth=2
	v_add_co_u32 v29, vcc_lo, s10, v29
	v_add_co_ci_u32_e32 v30, vcc_lo, s33, v30, vcc_lo
	v_ashrrev_i32_e32 v28, 31, v27
	s_mov_b32 s65, exec_lo
	global_load_b32 v42, v[25:26], off offset:4
	global_load_b32 v44, v[29:30], off
	v_add_nc_u32_e32 v31, 1, v31
	v_lshlrev_b64 v[34:35], 2, v[27:28]
	ds_store_2addr_b32 v0, v0, v31 offset0:2 offset1:7
	v_add_co_u32 v32, vcc_lo, s18, v34
	v_add_co_ci_u32_e32 v33, vcc_lo, s19, v35, vcc_lo
	global_load_b32 v43, v[32:33], off
	s_waitcnt vmcnt(2)
	v_sub_f32_e32 v28, v42, v41
	s_waitcnt vmcnt(1)
	v_add_f32_e32 v42, v44, v44
	s_delay_alu instid0(VALU_DEP_1) | instskip(SKIP_1) | instid1(VALU_DEP_2)
	v_div_scale_f32 v45, null, v42, v42, v28
	v_div_scale_f32 v48, vcc_lo, v28, v42, v28
	v_rcp_f32_e32 v46, v45
	s_waitcnt_depctr 0xfff
	v_fma_f32 v47, -v45, v46, 1.0
	s_delay_alu instid0(VALU_DEP_1) | instskip(NEXT) | instid1(VALU_DEP_1)
	v_fmac_f32_e32 v46, v47, v46
	v_mul_f32_e32 v47, v48, v46
	s_delay_alu instid0(VALU_DEP_1) | instskip(NEXT) | instid1(VALU_DEP_1)
	v_fma_f32 v49, -v45, v47, v48
	v_fmac_f32_e32 v47, v49, v46
	s_delay_alu instid0(VALU_DEP_1) | instskip(NEXT) | instid1(VALU_DEP_1)
	v_fma_f32 v45, -v45, v47, v48
	v_div_fmas_f32 v45, v45, v46, v47
	s_delay_alu instid0(VALU_DEP_1) | instskip(NEXT) | instid1(VALU_DEP_1)
	v_div_fixup_f32 v28, v45, v42, v28
	v_fma_f32 v42, v28, v28, 1.0
	s_delay_alu instid0(VALU_DEP_1) | instskip(SKIP_1) | instid1(VALU_DEP_2)
	v_mul_f32_e32 v45, 0x4f800000, v42
	v_cmp_gt_f32_e32 vcc_lo, 0xf800000, v42
	v_cndmask_b32_e32 v42, v42, v45, vcc_lo
	s_delay_alu instid0(VALU_DEP_1) | instskip(SKIP_3) | instid1(VALU_DEP_2)
	v_sqrt_f32_e32 v45, v42
	s_waitcnt_depctr 0xfff
	v_add_nc_u32_e32 v46, -1, v45
	v_add_nc_u32_e32 v47, 1, v45
	v_fma_f32 v48, -v46, v45, v42
	s_delay_alu instid0(VALU_DEP_2) | instskip(NEXT) | instid1(VALU_DEP_2)
	v_fma_f32 v49, -v47, v45, v42
	v_cmp_ge_f32_e64 s3, 0, v48
	s_delay_alu instid0(VALU_DEP_1) | instskip(NEXT) | instid1(VALU_DEP_3)
	v_cndmask_b32_e64 v45, v45, v46, s3
	v_cmp_lt_f32_e64 s3, 0, v49
	s_delay_alu instid0(VALU_DEP_1) | instskip(NEXT) | instid1(VALU_DEP_1)
	v_cndmask_b32_e64 v45, v45, v47, s3
	v_mul_f32_e32 v46, 0x37800000, v45
	s_delay_alu instid0(VALU_DEP_1) | instskip(SKIP_1) | instid1(VALU_DEP_2)
	v_cndmask_b32_e32 v45, v45, v46, vcc_lo
	v_cmp_class_f32_e64 vcc_lo, v42, 0x260
	v_cndmask_b32_e32 v42, v45, v42, vcc_lo
	v_cmp_nle_f32_e32 vcc_lo, 0, v28
	s_delay_alu instid0(VALU_DEP_2) | instskip(NEXT) | instid1(VALU_DEP_1)
	v_cndmask_b32_e64 v42, |v42|, -|v42|, vcc_lo
	v_add_f32_e32 v28, v28, v42
	s_delay_alu instid0(VALU_DEP_1) | instskip(SKIP_1) | instid1(VALU_DEP_2)
	v_div_scale_f32 v42, null, v28, v28, v44
	v_div_scale_f32 v47, vcc_lo, v44, v28, v44
	v_rcp_f32_e32 v45, v42
	s_waitcnt_depctr 0xfff
	v_fma_f32 v46, -v42, v45, 1.0
	s_delay_alu instid0(VALU_DEP_1) | instskip(NEXT) | instid1(VALU_DEP_1)
	v_fmac_f32_e32 v45, v46, v45
	v_mul_f32_e32 v46, v47, v45
	s_delay_alu instid0(VALU_DEP_1) | instskip(NEXT) | instid1(VALU_DEP_1)
	v_fma_f32 v48, -v42, v46, v47
	v_fmac_f32_e32 v46, v48, v45
	s_delay_alu instid0(VALU_DEP_1) | instskip(NEXT) | instid1(VALU_DEP_1)
	v_fma_f32 v42, -v42, v46, v47
	v_div_fmas_f32 v42, v42, v45, v46
	s_waitcnt vmcnt(0)
	v_sub_f32_e32 v45, v43, v41
	s_delay_alu instid0(VALU_DEP_2) | instskip(SKIP_1) | instid1(VALU_DEP_2)
	v_div_fixup_f32 v28, v42, v28, v44
	v_mov_b32_e32 v42, 0
	v_add_f32_e32 v28, v45, v28
	v_cmpx_gt_i32_e64 v27, v24
	s_cbranch_execz .LBB6_94
; %bb.69:                               ;   in Loop: Header=BB6_53 Depth=2
	v_add_co_u32 v41, vcc_lo, s42, v34
	v_add_co_ci_u32_e32 v42, vcc_lo, s43, v35, vcc_lo
	v_mov_b32_e32 v45, 0
	s_mov_b32 s56, exec_lo
	global_load_b32 v44, v[41:42], off
	v_mov_b32_e32 v41, 1.0
	s_waitcnt vmcnt(0)
	v_cmpx_neq_f32_e32 0, v44
	s_cbranch_execz .LBB6_77
; %bb.70:                               ;   in Loop: Header=BB6_53 Depth=2
	v_mov_b32_e32 v45, 1.0
	v_mov_b32_e32 v41, 0
	s_mov_b32 s57, exec_lo
	v_cmpx_neq_f32_e32 0, v28
	s_cbranch_execz .LBB6_76
; %bb.71:                               ;   in Loop: Header=BB6_53 Depth=2
	s_mov_b32 s58, exec_lo
                                        ; implicit-def: $vgpr45
                                        ; implicit-def: $vgpr41
	v_cmpx_ngt_f32_e64 |v44|, |v28|
	s_xor_b32 s58, exec_lo, s58
	s_cbranch_execz .LBB6_73
; %bb.72:                               ;   in Loop: Header=BB6_53 Depth=2
	v_div_scale_f32 v31, null, v28, v28, -v44
	v_div_scale_f32 v45, vcc_lo, -v44, v28, -v44
	s_delay_alu instid0(VALU_DEP_2) | instskip(SKIP_2) | instid1(VALU_DEP_1)
	v_rcp_f32_e32 v41, v31
	s_waitcnt_depctr 0xfff
	v_fma_f32 v42, -v31, v41, 1.0
	v_fmac_f32_e32 v41, v42, v41
	s_delay_alu instid0(VALU_DEP_1) | instskip(NEXT) | instid1(VALU_DEP_1)
	v_mul_f32_e32 v42, v45, v41
	v_fma_f32 v46, -v31, v42, v45
	s_delay_alu instid0(VALU_DEP_1) | instskip(NEXT) | instid1(VALU_DEP_1)
	v_fmac_f32_e32 v42, v46, v41
	v_fma_f32 v31, -v31, v42, v45
	s_delay_alu instid0(VALU_DEP_1) | instskip(NEXT) | instid1(VALU_DEP_1)
	v_div_fmas_f32 v31, v31, v41, v42
	v_div_fixup_f32 v28, v31, v28, -v44
	s_delay_alu instid0(VALU_DEP_1) | instskip(NEXT) | instid1(VALU_DEP_1)
	v_fma_f32 v31, v28, v28, 1.0
	v_mul_f32_e32 v41, 0x4f800000, v31
	v_cmp_gt_f32_e32 vcc_lo, 0xf800000, v31
	s_delay_alu instid0(VALU_DEP_2) | instskip(NEXT) | instid1(VALU_DEP_1)
	v_cndmask_b32_e32 v31, v31, v41, vcc_lo
	v_sqrt_f32_e32 v41, v31
	s_waitcnt_depctr 0xfff
	v_add_nc_u32_e32 v42, -1, v41
	v_add_nc_u32_e32 v45, 1, v41
	s_delay_alu instid0(VALU_DEP_2) | instskip(NEXT) | instid1(VALU_DEP_2)
	v_fma_f32 v46, -v42, v41, v31
	v_fma_f32 v47, -v45, v41, v31
	s_delay_alu instid0(VALU_DEP_2) | instskip(NEXT) | instid1(VALU_DEP_1)
	v_cmp_ge_f32_e64 s3, 0, v46
	v_cndmask_b32_e64 v41, v41, v42, s3
	s_delay_alu instid0(VALU_DEP_3) | instskip(NEXT) | instid1(VALU_DEP_1)
	v_cmp_lt_f32_e64 s3, 0, v47
	v_cndmask_b32_e64 v41, v41, v45, s3
	s_delay_alu instid0(VALU_DEP_1) | instskip(NEXT) | instid1(VALU_DEP_1)
	v_mul_f32_e32 v42, 0x37800000, v41
	v_cndmask_b32_e32 v41, v41, v42, vcc_lo
	v_cmp_class_f32_e64 vcc_lo, v31, 0x260
	s_delay_alu instid0(VALU_DEP_2) | instskip(NEXT) | instid1(VALU_DEP_1)
	v_cndmask_b32_e32 v31, v41, v31, vcc_lo
	v_div_scale_f32 v41, null, v31, v31, 1.0
	s_delay_alu instid0(VALU_DEP_1) | instskip(SKIP_2) | instid1(VALU_DEP_1)
	v_rcp_f32_e32 v42, v41
	s_waitcnt_depctr 0xfff
	v_fma_f32 v45, -v41, v42, 1.0
	v_fmac_f32_e32 v42, v45, v42
	v_div_scale_f32 v45, vcc_lo, 1.0, v31, 1.0
	s_delay_alu instid0(VALU_DEP_1) | instskip(NEXT) | instid1(VALU_DEP_1)
	v_mul_f32_e32 v46, v45, v42
	v_fma_f32 v47, -v41, v46, v45
	s_delay_alu instid0(VALU_DEP_1) | instskip(NEXT) | instid1(VALU_DEP_1)
	v_fmac_f32_e32 v46, v47, v42
	v_fma_f32 v41, -v41, v46, v45
	s_delay_alu instid0(VALU_DEP_1) | instskip(NEXT) | instid1(VALU_DEP_1)
	v_div_fmas_f32 v41, v41, v42, v46
	v_div_fixup_f32 v41, v41, v31, 1.0
	s_delay_alu instid0(VALU_DEP_1)
	v_mul_f32_e32 v45, v28, v41
                                        ; implicit-def: $vgpr28
.LBB6_73:                               ;   in Loop: Header=BB6_53 Depth=2
	s_and_not1_saveexec_b32 s58, s58
	s_cbranch_execz .LBB6_75
; %bb.74:                               ;   in Loop: Header=BB6_53 Depth=2
	v_div_scale_f32 v31, null, v44, v44, -v28
	v_div_scale_f32 v45, vcc_lo, -v28, v44, -v28
	s_delay_alu instid0(VALU_DEP_2) | instskip(SKIP_2) | instid1(VALU_DEP_1)
	v_rcp_f32_e32 v41, v31
	s_waitcnt_depctr 0xfff
	v_fma_f32 v42, -v31, v41, 1.0
	v_fmac_f32_e32 v41, v42, v41
	s_delay_alu instid0(VALU_DEP_1) | instskip(NEXT) | instid1(VALU_DEP_1)
	v_mul_f32_e32 v42, v45, v41
	v_fma_f32 v46, -v31, v42, v45
	s_delay_alu instid0(VALU_DEP_1) | instskip(NEXT) | instid1(VALU_DEP_1)
	v_fmac_f32_e32 v42, v46, v41
	v_fma_f32 v31, -v31, v42, v45
	s_delay_alu instid0(VALU_DEP_1) | instskip(NEXT) | instid1(VALU_DEP_1)
	v_div_fmas_f32 v31, v31, v41, v42
	v_div_fixup_f32 v28, v31, v44, -v28
	s_delay_alu instid0(VALU_DEP_1) | instskip(NEXT) | instid1(VALU_DEP_1)
	v_fma_f32 v31, v28, v28, 1.0
	v_mul_f32_e32 v41, 0x4f800000, v31
	v_cmp_gt_f32_e32 vcc_lo, 0xf800000, v31
	s_delay_alu instid0(VALU_DEP_2) | instskip(NEXT) | instid1(VALU_DEP_1)
	v_cndmask_b32_e32 v31, v31, v41, vcc_lo
	v_sqrt_f32_e32 v41, v31
	s_waitcnt_depctr 0xfff
	v_add_nc_u32_e32 v42, -1, v41
	v_add_nc_u32_e32 v45, 1, v41
	s_delay_alu instid0(VALU_DEP_2) | instskip(NEXT) | instid1(VALU_DEP_2)
	v_fma_f32 v46, -v42, v41, v31
	v_fma_f32 v47, -v45, v41, v31
	s_delay_alu instid0(VALU_DEP_2) | instskip(NEXT) | instid1(VALU_DEP_1)
	v_cmp_ge_f32_e64 s3, 0, v46
	v_cndmask_b32_e64 v41, v41, v42, s3
	s_delay_alu instid0(VALU_DEP_3) | instskip(NEXT) | instid1(VALU_DEP_1)
	v_cmp_lt_f32_e64 s3, 0, v47
	v_cndmask_b32_e64 v41, v41, v45, s3
	s_delay_alu instid0(VALU_DEP_1) | instskip(NEXT) | instid1(VALU_DEP_1)
	v_mul_f32_e32 v42, 0x37800000, v41
	v_cndmask_b32_e32 v41, v41, v42, vcc_lo
	v_cmp_class_f32_e64 vcc_lo, v31, 0x260
	s_delay_alu instid0(VALU_DEP_2) | instskip(NEXT) | instid1(VALU_DEP_1)
	v_cndmask_b32_e32 v31, v41, v31, vcc_lo
	v_div_scale_f32 v41, null, v31, v31, 1.0
	s_delay_alu instid0(VALU_DEP_1) | instskip(SKIP_2) | instid1(VALU_DEP_1)
	v_rcp_f32_e32 v42, v41
	s_waitcnt_depctr 0xfff
	v_fma_f32 v45, -v41, v42, 1.0
	v_fmac_f32_e32 v42, v45, v42
	v_div_scale_f32 v45, vcc_lo, 1.0, v31, 1.0
	s_delay_alu instid0(VALU_DEP_1) | instskip(NEXT) | instid1(VALU_DEP_1)
	v_mul_f32_e32 v46, v45, v42
	v_fma_f32 v47, -v41, v46, v45
	s_delay_alu instid0(VALU_DEP_1) | instskip(NEXT) | instid1(VALU_DEP_1)
	v_fmac_f32_e32 v46, v47, v42
	v_fma_f32 v41, -v41, v46, v45
	s_delay_alu instid0(VALU_DEP_1) | instskip(NEXT) | instid1(VALU_DEP_1)
	v_div_fmas_f32 v41, v41, v42, v46
	v_div_fixup_f32 v45, v41, v31, 1.0
	s_delay_alu instid0(VALU_DEP_1)
	v_mul_f32_e32 v41, v28, v45
.LBB6_75:                               ;   in Loop: Header=BB6_53 Depth=2
	s_or_b32 exec_lo, exec_lo, s58
.LBB6_76:                               ;   in Loop: Header=BB6_53 Depth=2
	s_delay_alu instid0(SALU_CYCLE_1)
	s_or_b32 exec_lo, exec_lo, s57
.LBB6_77:                               ;   in Loop: Header=BB6_53 Depth=2
	s_delay_alu instid0(SALU_CYCLE_1)
	s_or_b32 exec_lo, exec_lo, s56
	global_load_b32 v28, v[32:33], off offset:-4
	v_dual_add_f32 v42, v41, v41 :: v_dual_add_nc_u32 v31, -1, v27
	v_add_co_u32 v34, vcc_lo, s44, v34
	v_add_co_ci_u32_e32 v35, vcc_lo, s45, v35, vcc_lo
	s_mov_b32 s66, exec_lo
	s_delay_alu instid0(VALU_DEP_2) | instskip(NEXT) | instid1(VALU_DEP_2)
	v_add_co_u32 v46, vcc_lo, v34, s46
	v_add_co_ci_u32_e32 v47, vcc_lo, s47, v35, vcc_lo
	s_waitcnt vmcnt(0)
	v_sub_f32_e32 v28, v28, v43
	s_delay_alu instid0(VALU_DEP_1) | instskip(NEXT) | instid1(VALU_DEP_1)
	v_mul_f32_e32 v28, v45, v28
	v_fma_f32 v28, v44, v42, -v28
	s_delay_alu instid0(VALU_DEP_1)
	v_mul_f32_e64 v42, v28, -v45
	v_fma_f32 v43, v28, -v45, v43
	v_fma_f32 v28, v41, v28, -v44
	ds_store_b32 v0, v42 offset:8
	global_store_b32 v[32:33], v43, off
	s_clause 0x1
	global_store_b32 v[34:35], v41, off
	global_store_b32 v[46:47], v45, off offset:-4
	v_cmpx_gt_i32_e64 v31, v24
	s_cbranch_execz .LBB6_93
; %bb.78:                               ;   in Loop: Header=BB6_53 Depth=2
	v_ashrrev_i32_e32 v32, 31, v31
	v_xor_b32_e32 v43, 0x80000000, v45
	s_mov_b32 s67, -1
	s_mov_b32 s80, 0
	s_mov_b64 s[56:57], s[42:43]
	v_lshlrev_b64 v[31:32], 2, v[31:32]
	s_mov_b64 s[58:59], s[18:19]
	s_mov_b64 s[60:61], s[50:51]
	;; [unrolled: 1-line block ×3, first 2 shown]
	s_branch .LBB6_80
.LBB6_79:                               ;   in Loop: Header=BB6_80 Depth=3
	v_add_co_u32 v33, vcc_lo, s58, v31
	v_add_co_ci_u32_e32 v34, vcc_lo, s59, v32, vcc_lo
	v_xor_b32_e32 v43, 0x80000000, v44
	global_load_b64 v[46:47], v[33:34], off offset:-4
	s_waitcnt vmcnt(0)
	v_sub_f32_e32 v42, v47, v42
	v_mul_f32_e32 v28, v41, v35
	v_add_co_u32 v47, vcc_lo, s62, v31
	v_add_co_ci_u32_e32 v48, vcc_lo, s63, v32, vcc_lo
	s_delay_alu instid0(VALU_DEP_4)
	v_sub_f32_e32 v41, v46, v42
	s_add_u32 s62, s62, -4
	v_add_co_u32 v49, vcc_lo, s60, v31
	s_addc_u32 s63, s63, -1
	s_add_u32 s60, s60, -4
	v_add_f32_e32 v35, v45, v45
	v_add_co_ci_u32_e32 v50, vcc_lo, s61, v32, vcc_lo
	s_addc_u32 s61, s61, -1
	s_add_i32 s67, s67, -1
	s_delay_alu instid0(SALU_CYCLE_1) | instskip(SKIP_3) | instid1(VALU_DEP_2)
	v_dual_mul_f32 v46, v44, v41 :: v_dual_add_nc_u32 v51, s67, v27
	s_add_u32 s58, s58, -4
	v_mov_b32_e32 v41, v45
	s_addc_u32 s59, s59, -1
	v_fma_f32 v35, v28, v35, -v46
	v_cmp_le_i32_e32 vcc_lo, v51, v24
	s_add_u32 s56, s56, -4
	s_addc_u32 s57, s57, -1
	s_delay_alu instid0(VALU_DEP_2)
	v_fma_f32 v46, v35, -v44, v42
	v_mul_f32_e64 v42, v35, -v44
	v_fma_f32 v28, v45, v35, -v28
	s_or_b32 s80, vcc_lo, s80
	global_store_b32 v[33:34], v46, off
	global_store_b32 v[47:48], v45, off
	;; [unrolled: 1-line block ×3, first 2 shown]
	s_and_not1_b32 exec_lo, exec_lo, s80
	s_cbranch_execz .LBB6_92
.LBB6_80:                               ;   Parent Loop BB6_7 Depth=1
                                        ;     Parent Loop BB6_53 Depth=2
                                        ; =>    This Inner Loop Header: Depth=3
	s_delay_alu instid0(VALU_DEP_1)
	v_add_co_u32 v33, vcc_lo, s56, v31
	v_add_co_ci_u32_e32 v34, vcc_lo, s57, v32, vcc_lo
	v_mov_b32_e32 v45, 1.0
	s_mov_b32 s81, exec_lo
	v_mov_b32_e32 v44, 0
	global_load_b32 v35, v[33:34], off
	s_waitcnt vmcnt(0)
	v_mul_f32_e32 v43, v43, v35
	s_delay_alu instid0(VALU_DEP_1)
	v_cmpx_neq_f32_e32 0, v43
	s_cbranch_execz .LBB6_90
; %bb.81:                               ;   in Loop: Header=BB6_80 Depth=3
                                        ; implicit-def: $vgpr44
                                        ; implicit-def: $vgpr45
	s_mov_b32 s3, exec_lo
	v_cmpx_neq_f32_e32 0, v28
	s_xor_b32 s82, exec_lo, s3
	s_cbranch_execz .LBB6_87
; %bb.82:                               ;   in Loop: Header=BB6_80 Depth=3
	s_mov_b32 s83, exec_lo
                                        ; implicit-def: $vgpr44
                                        ; implicit-def: $vgpr45
	v_cmpx_ngt_f32_e64 |v43|, |v28|
	s_xor_b32 s83, exec_lo, s83
	s_cbranch_execz .LBB6_84
; %bb.83:                               ;   in Loop: Header=BB6_80 Depth=3
	v_div_scale_f32 v44, null, v28, v28, -v43
	v_div_scale_f32 v47, vcc_lo, -v43, v28, -v43
	s_delay_alu instid0(VALU_DEP_2) | instskip(SKIP_2) | instid1(VALU_DEP_1)
	v_rcp_f32_e32 v45, v44
	s_waitcnt_depctr 0xfff
	v_fma_f32 v46, -v44, v45, 1.0
	v_fmac_f32_e32 v45, v46, v45
	s_delay_alu instid0(VALU_DEP_1) | instskip(NEXT) | instid1(VALU_DEP_1)
	v_mul_f32_e32 v46, v47, v45
	v_fma_f32 v48, -v44, v46, v47
	s_delay_alu instid0(VALU_DEP_1) | instskip(NEXT) | instid1(VALU_DEP_1)
	v_fmac_f32_e32 v46, v48, v45
	v_fma_f32 v44, -v44, v46, v47
	s_delay_alu instid0(VALU_DEP_1) | instskip(NEXT) | instid1(VALU_DEP_1)
	v_div_fmas_f32 v44, v44, v45, v46
	v_div_fixup_f32 v44, v44, v28, -v43
	s_delay_alu instid0(VALU_DEP_1) | instskip(NEXT) | instid1(VALU_DEP_1)
	v_fma_f32 v45, v44, v44, 1.0
	v_mul_f32_e32 v46, 0x4f800000, v45
	v_cmp_gt_f32_e32 vcc_lo, 0xf800000, v45
	s_delay_alu instid0(VALU_DEP_2) | instskip(NEXT) | instid1(VALU_DEP_1)
	v_cndmask_b32_e32 v45, v45, v46, vcc_lo
	v_sqrt_f32_e32 v46, v45
	s_waitcnt_depctr 0xfff
	v_add_nc_u32_e32 v47, -1, v46
	v_add_nc_u32_e32 v48, 1, v46
	s_delay_alu instid0(VALU_DEP_2) | instskip(NEXT) | instid1(VALU_DEP_2)
	v_fma_f32 v49, -v47, v46, v45
	v_fma_f32 v50, -v48, v46, v45
	s_delay_alu instid0(VALU_DEP_2) | instskip(NEXT) | instid1(VALU_DEP_1)
	v_cmp_ge_f32_e64 s3, 0, v49
	v_cndmask_b32_e64 v46, v46, v47, s3
	s_delay_alu instid0(VALU_DEP_3) | instskip(NEXT) | instid1(VALU_DEP_1)
	v_cmp_lt_f32_e64 s3, 0, v50
	v_cndmask_b32_e64 v46, v46, v48, s3
	s_delay_alu instid0(VALU_DEP_1) | instskip(NEXT) | instid1(VALU_DEP_1)
	v_mul_f32_e32 v47, 0x37800000, v46
	v_cndmask_b32_e32 v46, v46, v47, vcc_lo
	v_cmp_class_f32_e64 vcc_lo, v45, 0x260
	s_delay_alu instid0(VALU_DEP_2) | instskip(NEXT) | instid1(VALU_DEP_1)
	v_cndmask_b32_e32 v45, v46, v45, vcc_lo
	v_div_scale_f32 v46, null, v45, v45, 1.0
	s_delay_alu instid0(VALU_DEP_1) | instskip(SKIP_2) | instid1(VALU_DEP_1)
	v_rcp_f32_e32 v47, v46
	s_waitcnt_depctr 0xfff
	v_fma_f32 v48, -v46, v47, 1.0
	v_fmac_f32_e32 v47, v48, v47
	v_div_scale_f32 v48, vcc_lo, 1.0, v45, 1.0
	s_delay_alu instid0(VALU_DEP_1) | instskip(NEXT) | instid1(VALU_DEP_1)
	v_mul_f32_e32 v49, v48, v47
	v_fma_f32 v50, -v46, v49, v48
	s_delay_alu instid0(VALU_DEP_1) | instskip(NEXT) | instid1(VALU_DEP_1)
	v_fmac_f32_e32 v49, v50, v47
	v_fma_f32 v46, -v46, v49, v48
	s_delay_alu instid0(VALU_DEP_1) | instskip(NEXT) | instid1(VALU_DEP_1)
	v_div_fmas_f32 v46, v46, v47, v49
	v_div_fixup_f32 v45, v46, v45, 1.0
	s_delay_alu instid0(VALU_DEP_1)
	v_mul_f32_e32 v44, v44, v45
.LBB6_84:                               ;   in Loop: Header=BB6_80 Depth=3
	s_and_not1_saveexec_b32 s83, s83
	s_cbranch_execz .LBB6_86
; %bb.85:                               ;   in Loop: Header=BB6_80 Depth=3
	v_div_scale_f32 v44, null, v43, v43, -v28
	v_div_scale_f32 v47, vcc_lo, -v28, v43, -v28
	s_delay_alu instid0(VALU_DEP_2) | instskip(SKIP_2) | instid1(VALU_DEP_1)
	v_rcp_f32_e32 v45, v44
	s_waitcnt_depctr 0xfff
	v_fma_f32 v46, -v44, v45, 1.0
	v_fmac_f32_e32 v45, v46, v45
	s_delay_alu instid0(VALU_DEP_1) | instskip(NEXT) | instid1(VALU_DEP_1)
	v_mul_f32_e32 v46, v47, v45
	v_fma_f32 v48, -v44, v46, v47
	s_delay_alu instid0(VALU_DEP_1) | instskip(NEXT) | instid1(VALU_DEP_1)
	v_fmac_f32_e32 v46, v48, v45
	v_fma_f32 v44, -v44, v46, v47
	s_delay_alu instid0(VALU_DEP_1) | instskip(NEXT) | instid1(VALU_DEP_1)
	v_div_fmas_f32 v44, v44, v45, v46
	v_div_fixup_f32 v45, v44, v43, -v28
	s_delay_alu instid0(VALU_DEP_1) | instskip(NEXT) | instid1(VALU_DEP_1)
	v_fma_f32 v44, v45, v45, 1.0
	v_mul_f32_e32 v46, 0x4f800000, v44
	v_cmp_gt_f32_e32 vcc_lo, 0xf800000, v44
	s_delay_alu instid0(VALU_DEP_2) | instskip(NEXT) | instid1(VALU_DEP_1)
	v_cndmask_b32_e32 v44, v44, v46, vcc_lo
	v_sqrt_f32_e32 v46, v44
	s_waitcnt_depctr 0xfff
	v_add_nc_u32_e32 v47, -1, v46
	v_add_nc_u32_e32 v48, 1, v46
	s_delay_alu instid0(VALU_DEP_2) | instskip(NEXT) | instid1(VALU_DEP_2)
	v_fma_f32 v49, -v47, v46, v44
	v_fma_f32 v50, -v48, v46, v44
	s_delay_alu instid0(VALU_DEP_2) | instskip(NEXT) | instid1(VALU_DEP_1)
	v_cmp_ge_f32_e64 s3, 0, v49
	v_cndmask_b32_e64 v46, v46, v47, s3
	s_delay_alu instid0(VALU_DEP_3) | instskip(NEXT) | instid1(VALU_DEP_1)
	v_cmp_lt_f32_e64 s3, 0, v50
	v_cndmask_b32_e64 v46, v46, v48, s3
	s_delay_alu instid0(VALU_DEP_1) | instskip(NEXT) | instid1(VALU_DEP_1)
	v_mul_f32_e32 v47, 0x37800000, v46
	v_cndmask_b32_e32 v46, v46, v47, vcc_lo
	v_cmp_class_f32_e64 vcc_lo, v44, 0x260
	s_delay_alu instid0(VALU_DEP_2) | instskip(NEXT) | instid1(VALU_DEP_1)
	v_cndmask_b32_e32 v44, v46, v44, vcc_lo
	v_div_scale_f32 v46, null, v44, v44, 1.0
	s_delay_alu instid0(VALU_DEP_1) | instskip(SKIP_2) | instid1(VALU_DEP_1)
	v_rcp_f32_e32 v47, v46
	s_waitcnt_depctr 0xfff
	v_fma_f32 v48, -v46, v47, 1.0
	v_fmac_f32_e32 v47, v48, v47
	v_div_scale_f32 v48, vcc_lo, 1.0, v44, 1.0
	s_delay_alu instid0(VALU_DEP_1) | instskip(NEXT) | instid1(VALU_DEP_1)
	v_mul_f32_e32 v49, v48, v47
	v_fma_f32 v50, -v46, v49, v48
	s_delay_alu instid0(VALU_DEP_1) | instskip(NEXT) | instid1(VALU_DEP_1)
	v_fmac_f32_e32 v49, v50, v47
	v_fma_f32 v46, -v46, v49, v48
	s_delay_alu instid0(VALU_DEP_1) | instskip(NEXT) | instid1(VALU_DEP_1)
	v_div_fmas_f32 v46, v46, v47, v49
	v_div_fixup_f32 v44, v46, v44, 1.0
	s_delay_alu instid0(VALU_DEP_1)
	v_mul_f32_e32 v45, v45, v44
.LBB6_86:                               ;   in Loop: Header=BB6_80 Depth=3
	s_or_b32 exec_lo, exec_lo, s83
	s_delay_alu instid0(VALU_DEP_1) | instskip(NEXT) | instid1(VALU_DEP_1)
	v_mul_f32_e32 v43, v43, v44
	v_fma_f32 v28, v28, v45, -v43
                                        ; implicit-def: $vgpr43
.LBB6_87:                               ;   in Loop: Header=BB6_80 Depth=3
	s_and_not1_saveexec_b32 s3, s82
; %bb.88:                               ;   in Loop: Header=BB6_80 Depth=3
	v_xor_b32_e32 v28, 0x80000000, v43
	v_dual_mov_b32 v44, 1.0 :: v_dual_mov_b32 v45, 0
; %bb.89:                               ;   in Loop: Header=BB6_80 Depth=3
	s_or_b32 exec_lo, exec_lo, s3
.LBB6_90:                               ;   in Loop: Header=BB6_80 Depth=3
	s_delay_alu instid0(SALU_CYCLE_1)
	s_or_b32 exec_lo, exec_lo, s81
	s_cmp_eq_u32 s67, 0
	s_cbranch_scc1 .LBB6_79
; %bb.91:                               ;   in Loop: Header=BB6_80 Depth=3
	global_store_b32 v[33:34], v28, off offset:4
	s_branch .LBB6_79
.LBB6_92:                               ;   in Loop: Header=BB6_53 Depth=2
	s_or_b32 exec_lo, exec_lo, s80
	ds_store_b32 v0, v42 offset:8
.LBB6_93:                               ;   in Loop: Header=BB6_53 Depth=2
	s_or_b32 exec_lo, exec_lo, s66
	global_load_b32 v41, v[25:26], off
.LBB6_94:                               ;   in Loop: Header=BB6_53 Depth=2
	s_or_b32 exec_lo, exec_lo, s65
	s_waitcnt vmcnt(0)
	v_sub_f32_e32 v24, v41, v42
                                        ; implicit-def: $vgpr41
	global_store_b32 v[25:26], v24, off
	global_store_b32 v[29:30], v28, off
                                        ; implicit-def: $vgpr29_vgpr30
                                        ; implicit-def: $vgpr25_vgpr26
                                        ; implicit-def: $vgpr24
.LBB6_95:                               ;   in Loop: Header=BB6_53 Depth=2
	s_and_not1_saveexec_b32 s56, s4
	s_cbranch_execz .LBB6_128
; %bb.96:                               ;   in Loop: Header=BB6_53 Depth=2
	v_add_co_u32 v27, vcc_lo, s10, v29
	v_add_co_ci_u32_e32 v28, vcc_lo, s33, v30, vcc_lo
	s_mov_b32 s4, exec_lo
                                        ; implicit-def: $vgpr35
	global_load_b32 v42, v[27:28], off
	global_load_b32 v31, v[25:26], off offset:4
	s_waitcnt vmcnt(0)
	v_dual_add_f32 v33, v42, v42 :: v_dual_sub_f32 v34, v41, v31
	s_delay_alu instid0(VALU_DEP_1) | instskip(NEXT) | instid1(VALU_DEP_2)
	v_and_b32_e32 v32, 0x7fffffff, v33
	v_cmpx_ngt_f32_e64 |v34|, |v33|
	s_xor_b32 s4, exec_lo, s4
	s_cbranch_execz .LBB6_102
; %bb.97:                               ;   in Loop: Header=BB6_53 Depth=2
	v_cmp_nlt_f32_e64 s3, |v34|, |v33|
                                        ; implicit-def: $vgpr35
	s_delay_alu instid0(VALU_DEP_1) | instskip(NEXT) | instid1(SALU_CYCLE_1)
	s_and_saveexec_b32 s57, s3
	s_xor_b32 s3, exec_lo, s57
; %bb.98:                               ;   in Loop: Header=BB6_53 Depth=2
	v_cvt_f64_f32_e32 v[43:44], v32
                                        ; implicit-def: $vgpr32
	s_delay_alu instid0(VALU_DEP_1) | instskip(NEXT) | instid1(VALU_DEP_1)
	v_mul_f64 v[43:44], v[43:44], s[54:55]
	v_cvt_f32_f64_e32 v35, v[43:44]
; %bb.99:                               ;   in Loop: Header=BB6_53 Depth=2
	s_and_not1_saveexec_b32 s57, s3
	s_cbranch_execz .LBB6_101
; %bb.100:                              ;   in Loop: Header=BB6_53 Depth=2
	v_and_b32_e32 v35, 0x7fffffff, v34
	s_delay_alu instid0(VALU_DEP_1) | instskip(NEXT) | instid1(VALU_DEP_1)
	v_div_scale_f32 v43, null, v32, v32, v35
	v_rcp_f32_e32 v44, v43
	s_waitcnt_depctr 0xfff
	v_fma_f32 v45, -v43, v44, 1.0
	s_delay_alu instid0(VALU_DEP_1) | instskip(SKIP_1) | instid1(VALU_DEP_1)
	v_fmac_f32_e32 v44, v45, v44
	v_div_scale_f32 v32, vcc_lo, v35, v32, v35
	v_mul_f32_e32 v35, v32, v44
	s_delay_alu instid0(VALU_DEP_1) | instskip(NEXT) | instid1(VALU_DEP_1)
	v_fma_f32 v45, -v43, v35, v32
	v_fmac_f32_e32 v35, v45, v44
	s_delay_alu instid0(VALU_DEP_1) | instskip(NEXT) | instid1(VALU_DEP_1)
	v_fma_f32 v32, -v43, v35, v32
	v_div_fmas_f32 v32, v32, v44, v35
	s_delay_alu instid0(VALU_DEP_1) | instskip(NEXT) | instid1(VALU_DEP_1)
	v_div_fixup_f32 v32, v32, |v33|, |v34|
	v_fma_f32 v32, v32, v32, 1.0
	s_delay_alu instid0(VALU_DEP_1) | instskip(SKIP_1) | instid1(VALU_DEP_2)
	v_mul_f32_e32 v35, 0x4f800000, v32
	v_cmp_gt_f32_e32 vcc_lo, 0xf800000, v32
	v_cndmask_b32_e32 v32, v32, v35, vcc_lo
	s_delay_alu instid0(VALU_DEP_1) | instskip(SKIP_3) | instid1(VALU_DEP_2)
	v_sqrt_f32_e32 v35, v32
	s_waitcnt_depctr 0xfff
	v_add_nc_u32_e32 v43, -1, v35
	v_add_nc_u32_e32 v44, 1, v35
	v_fma_f32 v45, -v43, v35, v32
	s_delay_alu instid0(VALU_DEP_2) | instskip(NEXT) | instid1(VALU_DEP_2)
	v_fma_f32 v46, -v44, v35, v32
	v_cmp_ge_f32_e64 s3, 0, v45
	s_delay_alu instid0(VALU_DEP_1) | instskip(NEXT) | instid1(VALU_DEP_3)
	v_cndmask_b32_e64 v35, v35, v43, s3
	v_cmp_lt_f32_e64 s3, 0, v46
	s_delay_alu instid0(VALU_DEP_1) | instskip(NEXT) | instid1(VALU_DEP_1)
	v_cndmask_b32_e64 v35, v35, v44, s3
	v_mul_f32_e32 v43, 0x37800000, v35
	s_delay_alu instid0(VALU_DEP_1) | instskip(SKIP_1) | instid1(VALU_DEP_2)
	v_cndmask_b32_e32 v35, v35, v43, vcc_lo
	v_cmp_class_f32_e64 vcc_lo, v32, 0x260
	v_cndmask_b32_e32 v32, v35, v32, vcc_lo
	s_delay_alu instid0(VALU_DEP_1)
	v_mul_f32_e64 v35, |v33|, v32
.LBB6_101:                              ;   in Loop: Header=BB6_53 Depth=2
	s_or_b32 exec_lo, exec_lo, s57
                                        ; implicit-def: $vgpr32
.LBB6_102:                              ;   in Loop: Header=BB6_53 Depth=2
	s_and_not1_saveexec_b32 s4, s4
	s_cbranch_execz .LBB6_104
; %bb.103:                              ;   in Loop: Header=BB6_53 Depth=2
	v_and_b32_e32 v35, 0x7fffffff, v34
	s_delay_alu instid0(VALU_DEP_1) | instskip(NEXT) | instid1(VALU_DEP_1)
	v_div_scale_f32 v43, null, v35, v35, v32
	v_rcp_f32_e32 v44, v43
	s_waitcnt_depctr 0xfff
	v_fma_f32 v45, -v43, v44, 1.0
	s_delay_alu instid0(VALU_DEP_1) | instskip(SKIP_1) | instid1(VALU_DEP_1)
	v_fmac_f32_e32 v44, v45, v44
	v_div_scale_f32 v32, vcc_lo, v32, v35, v32
	v_mul_f32_e32 v35, v32, v44
	s_delay_alu instid0(VALU_DEP_1) | instskip(NEXT) | instid1(VALU_DEP_1)
	v_fma_f32 v45, -v43, v35, v32
	v_fmac_f32_e32 v35, v45, v44
	s_delay_alu instid0(VALU_DEP_1) | instskip(NEXT) | instid1(VALU_DEP_1)
	v_fma_f32 v32, -v43, v35, v32
	v_div_fmas_f32 v32, v32, v44, v35
	s_delay_alu instid0(VALU_DEP_1) | instskip(NEXT) | instid1(VALU_DEP_1)
	v_div_fixup_f32 v32, v32, |v34|, |v33|
	v_fma_f32 v32, v32, v32, 1.0
	s_delay_alu instid0(VALU_DEP_1) | instskip(SKIP_1) | instid1(VALU_DEP_2)
	v_mul_f32_e32 v35, 0x4f800000, v32
	v_cmp_gt_f32_e32 vcc_lo, 0xf800000, v32
	v_cndmask_b32_e32 v32, v32, v35, vcc_lo
	s_delay_alu instid0(VALU_DEP_1) | instskip(SKIP_3) | instid1(VALU_DEP_2)
	v_sqrt_f32_e32 v35, v32
	s_waitcnt_depctr 0xfff
	v_add_nc_u32_e32 v43, -1, v35
	v_add_nc_u32_e32 v44, 1, v35
	v_fma_f32 v45, -v43, v35, v32
	s_delay_alu instid0(VALU_DEP_2) | instskip(NEXT) | instid1(VALU_DEP_2)
	v_fma_f32 v46, -v44, v35, v32
	v_cmp_ge_f32_e64 s3, 0, v45
	s_delay_alu instid0(VALU_DEP_1) | instskip(NEXT) | instid1(VALU_DEP_3)
	v_cndmask_b32_e64 v35, v35, v43, s3
	v_cmp_lt_f32_e64 s3, 0, v46
	s_delay_alu instid0(VALU_DEP_1) | instskip(NEXT) | instid1(VALU_DEP_1)
	v_cndmask_b32_e64 v35, v35, v44, s3
	v_mul_f32_e32 v43, 0x37800000, v35
	s_delay_alu instid0(VALU_DEP_1) | instskip(SKIP_1) | instid1(VALU_DEP_2)
	v_cndmask_b32_e32 v35, v35, v43, vcc_lo
	v_cmp_class_f32_e64 vcc_lo, v32, 0x260
	v_cndmask_b32_e32 v32, v35, v32, vcc_lo
	s_delay_alu instid0(VALU_DEP_1)
	v_mul_f32_e64 v35, |v34|, v32
.LBB6_104:                              ;   in Loop: Header=BB6_53 Depth=2
	s_or_b32 exec_lo, exec_lo, s4
	v_cmp_gt_f32_e64 vcc_lo, |v41|, |v31|
	v_add_f32_e32 v44, v41, v31
                                        ; implicit-def: $vgpr32
	s_mov_b32 s3, exec_lo
	v_cndmask_b32_e32 v45, v31, v41, vcc_lo
	v_cndmask_b32_e32 v43, v41, v31, vcc_lo
                                        ; implicit-def: $vgpr41
	s_delay_alu instid0(VALU_DEP_3)
	v_cmpx_ngt_f32_e32 0, v44
	s_xor_b32 s4, exec_lo, s3
	s_cbranch_execz .LBB6_110
; %bb.105:                              ;   in Loop: Header=BB6_53 Depth=2
	s_mov_b32 s57, exec_lo
                                        ; implicit-def: $sgpr3
                                        ; implicit-def: $vgpr32
	v_cmpx_nlt_f32_e32 0, v44
	s_xor_b32 s57, exec_lo, s57
; %bb.106:                              ;   in Loop: Header=BB6_53 Depth=2
	v_mul_f32_e32 v31, 0.5, v35
	v_mul_f32_e32 v32, -0.5, v35
	s_mov_b32 s3, 1
                                        ; implicit-def: $vgpr44
                                        ; implicit-def: $vgpr45
                                        ; implicit-def: $vgpr43
                                        ; implicit-def: $vgpr42
; %bb.107:                              ;   in Loop: Header=BB6_53 Depth=2
	s_or_saveexec_b32 s57, s57
	v_mov_b32_e32 v41, s3
	s_xor_b32 exec_lo, exec_lo, s57
	s_cbranch_execz .LBB6_109
; %bb.108:                              ;   in Loop: Header=BB6_53 Depth=2
	v_add_f32_e32 v31, v44, v35
	v_cvt_f64_f32_e32 v[44:45], v45
	v_cvt_f64_f32_e32 v[41:42], v42
	s_delay_alu instid0(VALU_DEP_3) | instskip(NEXT) | instid1(VALU_DEP_1)
	v_mul_f32_e32 v31, 0.5, v31
	v_cvt_f64_f32_e32 v[46:47], v31
	s_delay_alu instid0(VALU_DEP_1) | instskip(NEXT) | instid1(VALU_DEP_4)
	v_div_scale_f64 v[48:49], null, v[46:47], v[46:47], v[44:45]
	v_div_scale_f64 v[50:51], null, v[46:47], v[46:47], v[41:42]
	v_div_scale_f64 v[60:61], vcc_lo, v[44:45], v[46:47], v[44:45]
	s_delay_alu instid0(VALU_DEP_3) | instskip(NEXT) | instid1(VALU_DEP_2)
	v_rcp_f64_e32 v[52:53], v[48:49]
	v_rcp_f64_e32 v[54:55], v[50:51]
	s_waitcnt_depctr 0xfff
	v_fma_f64 v[56:57], -v[48:49], v[52:53], 1.0
	v_fma_f64 v[58:59], -v[50:51], v[54:55], 1.0
	s_delay_alu instid0(VALU_DEP_2) | instskip(NEXT) | instid1(VALU_DEP_2)
	v_fma_f64 v[52:53], v[52:53], v[56:57], v[52:53]
	v_fma_f64 v[54:55], v[54:55], v[58:59], v[54:55]
	s_delay_alu instid0(VALU_DEP_2) | instskip(NEXT) | instid1(VALU_DEP_2)
	v_fma_f64 v[56:57], -v[48:49], v[52:53], 1.0
	v_fma_f64 v[58:59], -v[50:51], v[54:55], 1.0
	s_delay_alu instid0(VALU_DEP_2) | instskip(SKIP_1) | instid1(VALU_DEP_3)
	v_fma_f64 v[52:53], v[52:53], v[56:57], v[52:53]
	v_div_scale_f64 v[56:57], s3, v[41:42], v[46:47], v[41:42]
	v_fma_f64 v[54:55], v[54:55], v[58:59], v[54:55]
	s_delay_alu instid0(VALU_DEP_3) | instskip(NEXT) | instid1(VALU_DEP_2)
	v_mul_f64 v[58:59], v[60:61], v[52:53]
	v_mul_f64 v[62:63], v[56:57], v[54:55]
	s_delay_alu instid0(VALU_DEP_2) | instskip(NEXT) | instid1(VALU_DEP_2)
	v_fma_f64 v[48:49], -v[48:49], v[58:59], v[60:61]
	v_fma_f64 v[50:51], -v[50:51], v[62:63], v[56:57]
	s_delay_alu instid0(VALU_DEP_2) | instskip(SKIP_1) | instid1(VALU_DEP_2)
	v_div_fmas_f64 v[48:49], v[48:49], v[52:53], v[58:59]
	s_mov_b32 vcc_lo, s3
	v_div_fmas_f64 v[50:51], v[50:51], v[54:55], v[62:63]
	s_delay_alu instid0(VALU_DEP_2) | instskip(NEXT) | instid1(VALU_DEP_2)
	v_div_fixup_f64 v[44:45], v[48:49], v[46:47], v[44:45]
	v_div_fixup_f64 v[50:51], v[50:51], v[46:47], v[41:42]
	v_cvt_f64_f32_e32 v[46:47], v43
	s_delay_alu instid0(VALU_DEP_2) | instskip(NEXT) | instid1(VALU_DEP_1)
	v_mul_f64 v[41:42], v[50:51], v[41:42]
	v_fma_f64 v[41:42], v[44:45], v[46:47], -v[41:42]
	s_delay_alu instid0(VALU_DEP_1)
	v_cvt_f32_f64_e32 v32, v[41:42]
	v_mov_b32_e32 v41, 1
.LBB6_109:                              ;   in Loop: Header=BB6_53 Depth=2
	s_or_b32 exec_lo, exec_lo, s57
                                        ; implicit-def: $vgpr44
                                        ; implicit-def: $vgpr45
                                        ; implicit-def: $vgpr43
                                        ; implicit-def: $vgpr42
.LBB6_110:                              ;   in Loop: Header=BB6_53 Depth=2
	s_and_not1_saveexec_b32 s4, s4
	s_cbranch_execz .LBB6_112
; %bb.111:                              ;   in Loop: Header=BB6_53 Depth=2
	v_sub_f32_e32 v31, v44, v35
	v_cvt_f64_f32_e32 v[44:45], v45
	v_cvt_f64_f32_e32 v[41:42], v42
	s_delay_alu instid0(VALU_DEP_3) | instskip(NEXT) | instid1(VALU_DEP_1)
	v_mul_f32_e32 v31, 0.5, v31
	v_cvt_f64_f32_e32 v[46:47], v31
	s_delay_alu instid0(VALU_DEP_1) | instskip(NEXT) | instid1(VALU_DEP_4)
	v_div_scale_f64 v[48:49], null, v[46:47], v[46:47], v[44:45]
	v_div_scale_f64 v[50:51], null, v[46:47], v[46:47], v[41:42]
	v_div_scale_f64 v[60:61], vcc_lo, v[44:45], v[46:47], v[44:45]
	s_delay_alu instid0(VALU_DEP_3) | instskip(NEXT) | instid1(VALU_DEP_2)
	v_rcp_f64_e32 v[52:53], v[48:49]
	v_rcp_f64_e32 v[54:55], v[50:51]
	s_waitcnt_depctr 0xfff
	v_fma_f64 v[56:57], -v[48:49], v[52:53], 1.0
	v_fma_f64 v[58:59], -v[50:51], v[54:55], 1.0
	s_delay_alu instid0(VALU_DEP_2) | instskip(NEXT) | instid1(VALU_DEP_2)
	v_fma_f64 v[52:53], v[52:53], v[56:57], v[52:53]
	v_fma_f64 v[54:55], v[54:55], v[58:59], v[54:55]
	s_delay_alu instid0(VALU_DEP_2) | instskip(NEXT) | instid1(VALU_DEP_2)
	v_fma_f64 v[56:57], -v[48:49], v[52:53], 1.0
	v_fma_f64 v[58:59], -v[50:51], v[54:55], 1.0
	s_delay_alu instid0(VALU_DEP_2) | instskip(SKIP_1) | instid1(VALU_DEP_3)
	v_fma_f64 v[52:53], v[52:53], v[56:57], v[52:53]
	v_div_scale_f64 v[56:57], s3, v[41:42], v[46:47], v[41:42]
	v_fma_f64 v[54:55], v[54:55], v[58:59], v[54:55]
	s_delay_alu instid0(VALU_DEP_3) | instskip(NEXT) | instid1(VALU_DEP_2)
	v_mul_f64 v[58:59], v[60:61], v[52:53]
	v_mul_f64 v[62:63], v[56:57], v[54:55]
	s_delay_alu instid0(VALU_DEP_2) | instskip(NEXT) | instid1(VALU_DEP_2)
	v_fma_f64 v[48:49], -v[48:49], v[58:59], v[60:61]
	v_fma_f64 v[50:51], -v[50:51], v[62:63], v[56:57]
	s_delay_alu instid0(VALU_DEP_2) | instskip(SKIP_1) | instid1(VALU_DEP_2)
	v_div_fmas_f64 v[48:49], v[48:49], v[52:53], v[58:59]
	s_mov_b32 vcc_lo, s3
	v_div_fmas_f64 v[50:51], v[50:51], v[54:55], v[62:63]
	s_delay_alu instid0(VALU_DEP_2) | instskip(NEXT) | instid1(VALU_DEP_2)
	v_div_fixup_f64 v[44:45], v[48:49], v[46:47], v[44:45]
	v_div_fixup_f64 v[50:51], v[50:51], v[46:47], v[41:42]
	v_cvt_f64_f32_e32 v[46:47], v43
	s_delay_alu instid0(VALU_DEP_2) | instskip(NEXT) | instid1(VALU_DEP_1)
	v_mul_f64 v[41:42], v[50:51], v[41:42]
	v_fma_f64 v[41:42], v[44:45], v[46:47], -v[41:42]
	s_delay_alu instid0(VALU_DEP_1)
	v_cvt_f32_f64_e32 v32, v[41:42]
	v_mov_b32_e32 v41, -1
.LBB6_112:                              ;   in Loop: Header=BB6_53 Depth=2
	s_or_b32 exec_lo, exec_lo, s4
	v_cmp_nle_f32_e64 s3, 0, v34
	s_mov_b32 s57, exec_lo
                                        ; implicit-def: $vgpr42
	s_delay_alu instid0(VALU_DEP_1) | instskip(NEXT) | instid1(VALU_DEP_1)
	v_cndmask_b32_e64 v35, v35, -v35, s3
	v_add_f32_e32 v34, v34, v35
                                        ; implicit-def: $vgpr35
	s_delay_alu instid0(VALU_DEP_1)
	v_cmpx_ngt_f32_e64 |v34|, |v33|
	s_xor_b32 s57, exec_lo, s57
	s_cbranch_execz .LBB6_116
; %bb.113:                              ;   in Loop: Header=BB6_53 Depth=2
	v_dual_mov_b32 v35, 1.0 :: v_dual_mov_b32 v42, 0
	s_mov_b32 s58, exec_lo
	v_cmpx_neq_f32_e32 0, v33
	s_cbranch_execz .LBB6_115
; %bb.114:                              ;   in Loop: Header=BB6_53 Depth=2
	v_div_scale_f32 v35, null, v33, v33, -v34
	v_div_scale_f32 v44, vcc_lo, -v34, v33, -v34
	s_delay_alu instid0(VALU_DEP_2) | instskip(SKIP_2) | instid1(VALU_DEP_1)
	v_rcp_f32_e32 v42, v35
	s_waitcnt_depctr 0xfff
	v_fma_f32 v43, -v35, v42, 1.0
	v_fmac_f32_e32 v42, v43, v42
	s_delay_alu instid0(VALU_DEP_1) | instskip(NEXT) | instid1(VALU_DEP_1)
	v_mul_f32_e32 v43, v44, v42
	v_fma_f32 v45, -v35, v43, v44
	s_delay_alu instid0(VALU_DEP_1) | instskip(NEXT) | instid1(VALU_DEP_1)
	v_fmac_f32_e32 v43, v45, v42
	v_fma_f32 v35, -v35, v43, v44
	s_delay_alu instid0(VALU_DEP_1) | instskip(NEXT) | instid1(VALU_DEP_1)
	v_div_fmas_f32 v35, v35, v42, v43
	v_div_fixup_f32 v33, v35, v33, -v34
	s_delay_alu instid0(VALU_DEP_1) | instskip(NEXT) | instid1(VALU_DEP_1)
	v_fma_f32 v34, v33, v33, 1.0
	v_mul_f32_e32 v35, 0x4f800000, v34
	v_cmp_gt_f32_e32 vcc_lo, 0xf800000, v34
	s_delay_alu instid0(VALU_DEP_2) | instskip(NEXT) | instid1(VALU_DEP_1)
	v_cndmask_b32_e32 v34, v34, v35, vcc_lo
	v_sqrt_f32_e32 v35, v34
	s_waitcnt_depctr 0xfff
	v_add_nc_u32_e32 v42, -1, v35
	v_add_nc_u32_e32 v43, 1, v35
	s_delay_alu instid0(VALU_DEP_2) | instskip(NEXT) | instid1(VALU_DEP_2)
	v_fma_f32 v44, -v42, v35, v34
	v_fma_f32 v45, -v43, v35, v34
	s_delay_alu instid0(VALU_DEP_2) | instskip(NEXT) | instid1(VALU_DEP_1)
	v_cmp_ge_f32_e64 s4, 0, v44
	v_cndmask_b32_e64 v35, v35, v42, s4
	s_delay_alu instid0(VALU_DEP_3) | instskip(NEXT) | instid1(VALU_DEP_1)
	v_cmp_lt_f32_e64 s4, 0, v45
	v_cndmask_b32_e64 v35, v35, v43, s4
	s_delay_alu instid0(VALU_DEP_1) | instskip(NEXT) | instid1(VALU_DEP_1)
	v_mul_f32_e32 v42, 0x37800000, v35
	v_cndmask_b32_e32 v35, v35, v42, vcc_lo
	v_cmp_class_f32_e64 vcc_lo, v34, 0x260
	s_delay_alu instid0(VALU_DEP_2) | instskip(NEXT) | instid1(VALU_DEP_1)
	v_cndmask_b32_e32 v34, v35, v34, vcc_lo
	v_div_scale_f32 v35, null, v34, v34, 1.0
	s_delay_alu instid0(VALU_DEP_1) | instskip(SKIP_2) | instid1(VALU_DEP_1)
	v_rcp_f32_e32 v42, v35
	s_waitcnt_depctr 0xfff
	v_fma_f32 v43, -v35, v42, 1.0
	v_fmac_f32_e32 v42, v43, v42
	v_div_scale_f32 v43, vcc_lo, 1.0, v34, 1.0
	s_delay_alu instid0(VALU_DEP_1) | instskip(NEXT) | instid1(VALU_DEP_1)
	v_mul_f32_e32 v44, v43, v42
	v_fma_f32 v45, -v35, v44, v43
	s_delay_alu instid0(VALU_DEP_1) | instskip(NEXT) | instid1(VALU_DEP_1)
	v_fmac_f32_e32 v44, v45, v42
	v_fma_f32 v35, -v35, v44, v43
	s_delay_alu instid0(VALU_DEP_1) | instskip(NEXT) | instid1(VALU_DEP_1)
	v_div_fmas_f32 v35, v35, v42, v44
	v_div_fixup_f32 v35, v35, v34, 1.0
	s_delay_alu instid0(VALU_DEP_1)
	v_mul_f32_e32 v42, v33, v35
.LBB6_115:                              ;   in Loop: Header=BB6_53 Depth=2
	s_or_b32 exec_lo, exec_lo, s58
                                        ; implicit-def: $vgpr34
                                        ; implicit-def: $vgpr33
.LBB6_116:                              ;   in Loop: Header=BB6_53 Depth=2
	s_and_not1_saveexec_b32 s57, s57
	s_cbranch_execz .LBB6_118
; %bb.117:                              ;   in Loop: Header=BB6_53 Depth=2
	v_div_scale_f32 v35, null, v34, v34, -v33
	v_div_scale_f32 v44, vcc_lo, -v33, v34, -v33
	s_delay_alu instid0(VALU_DEP_2) | instskip(SKIP_2) | instid1(VALU_DEP_1)
	v_rcp_f32_e32 v42, v35
	s_waitcnt_depctr 0xfff
	v_fma_f32 v43, -v35, v42, 1.0
	v_fmac_f32_e32 v42, v43, v42
	s_delay_alu instid0(VALU_DEP_1) | instskip(NEXT) | instid1(VALU_DEP_1)
	v_mul_f32_e32 v43, v44, v42
	v_fma_f32 v45, -v35, v43, v44
	s_delay_alu instid0(VALU_DEP_1) | instskip(NEXT) | instid1(VALU_DEP_1)
	v_fmac_f32_e32 v43, v45, v42
	v_fma_f32 v35, -v35, v43, v44
	s_delay_alu instid0(VALU_DEP_1) | instskip(NEXT) | instid1(VALU_DEP_1)
	v_div_fmas_f32 v35, v35, v42, v43
	v_div_fixup_f32 v33, v35, v34, -v33
	s_delay_alu instid0(VALU_DEP_1) | instskip(NEXT) | instid1(VALU_DEP_1)
	v_fma_f32 v34, v33, v33, 1.0
	v_mul_f32_e32 v35, 0x4f800000, v34
	v_cmp_gt_f32_e32 vcc_lo, 0xf800000, v34
	s_delay_alu instid0(VALU_DEP_2) | instskip(NEXT) | instid1(VALU_DEP_1)
	v_cndmask_b32_e32 v34, v34, v35, vcc_lo
	v_sqrt_f32_e32 v35, v34
	s_waitcnt_depctr 0xfff
	v_add_nc_u32_e32 v42, -1, v35
	v_add_nc_u32_e32 v43, 1, v35
	s_delay_alu instid0(VALU_DEP_2) | instskip(NEXT) | instid1(VALU_DEP_2)
	v_fma_f32 v44, -v42, v35, v34
	v_fma_f32 v45, -v43, v35, v34
	s_delay_alu instid0(VALU_DEP_2) | instskip(NEXT) | instid1(VALU_DEP_1)
	v_cmp_ge_f32_e64 s4, 0, v44
	v_cndmask_b32_e64 v35, v35, v42, s4
	s_delay_alu instid0(VALU_DEP_3) | instskip(NEXT) | instid1(VALU_DEP_1)
	v_cmp_lt_f32_e64 s4, 0, v45
	v_cndmask_b32_e64 v35, v35, v43, s4
	s_delay_alu instid0(VALU_DEP_1) | instskip(NEXT) | instid1(VALU_DEP_1)
	v_mul_f32_e32 v42, 0x37800000, v35
	v_cndmask_b32_e32 v35, v35, v42, vcc_lo
	v_cmp_class_f32_e64 vcc_lo, v34, 0x260
	s_delay_alu instid0(VALU_DEP_2) | instskip(NEXT) | instid1(VALU_DEP_1)
	v_cndmask_b32_e32 v34, v35, v34, vcc_lo
	v_div_scale_f32 v35, null, v34, v34, 1.0
	s_delay_alu instid0(VALU_DEP_1) | instskip(SKIP_2) | instid1(VALU_DEP_1)
	v_rcp_f32_e32 v42, v35
	s_waitcnt_depctr 0xfff
	v_fma_f32 v43, -v35, v42, 1.0
	v_fmac_f32_e32 v42, v43, v42
	v_div_scale_f32 v43, vcc_lo, 1.0, v34, 1.0
	s_delay_alu instid0(VALU_DEP_1) | instskip(NEXT) | instid1(VALU_DEP_1)
	v_mul_f32_e32 v44, v43, v42
	v_fma_f32 v45, -v35, v44, v43
	s_delay_alu instid0(VALU_DEP_1) | instskip(NEXT) | instid1(VALU_DEP_1)
	v_fmac_f32_e32 v44, v45, v42
	v_fma_f32 v35, -v35, v44, v43
	s_delay_alu instid0(VALU_DEP_1) | instskip(NEXT) | instid1(VALU_DEP_1)
	v_div_fmas_f32 v35, v35, v42, v44
	v_div_fixup_f32 v42, v35, v34, 1.0
	s_delay_alu instid0(VALU_DEP_1)
	v_mul_f32_e32 v35, v33, v42
.LBB6_118:                              ;   in Loop: Header=BB6_53 Depth=2
	s_or_b32 exec_lo, exec_lo, s57
	v_cndmask_b32_e64 v33, 1, -1, s3
	v_add_co_u32 v29, s3, s70, v29
	s_delay_alu instid0(VALU_DEP_1) | instskip(NEXT) | instid1(VALU_DEP_3)
	v_add_co_ci_u32_e64 v30, s3, s71, v30, s3
	v_cmp_eq_u32_e32 vcc_lo, v41, v33
	v_dual_cndmask_b32 v41, v42, v35 :: v_dual_add_nc_u32 v24, 2, v24
	v_cndmask_b32_e64 v35, v35, -v42, vcc_lo
	v_add_co_u32 v33, vcc_lo, v29, s46
	v_add_co_ci_u32_e32 v34, vcc_lo, s47, v30, vcc_lo
	s_clause 0x1
	global_store_b32 v[29:30], v35, off
	global_store_b32 v[33:34], v41, off offset:-4
	global_store_b64 v[25:26], v[31:32], off
	global_store_b32 v[27:28], v0, off
	ds_store_b32 v0, v24
	s_or_b32 exec_lo, exec_lo, s56
                                        ; implicit-def: $vgpr28
.LBB6_119:                              ;   in Loop: Header=BB6_53 Depth=2
	s_and_not1_saveexec_b32 s3, s64
	s_cbranch_execz .LBB6_121
.LBB6_120:                              ;   in Loop: Header=BB6_53 Depth=2
	ds_store_b32 v0, v28
.LBB6_121:                              ;   in Loop: Header=BB6_53 Depth=2
	s_or_b32 exec_lo, exec_lo, s3
.LBB6_122:                              ;   in Loop: Header=BB6_53 Depth=2
	s_delay_alu instid0(SALU_CYCLE_1)
	s_or_b32 exec_lo, exec_lo, s37
	s_waitcnt lgkmcnt(0)
	s_waitcnt_vscnt null, 0x0
	s_barrier
	buffer_gl0_inv
	ds_load_b64 v[24:25], v0
	s_waitcnt lgkmcnt(0)
	v_readfirstlane_b32 s3, v25
	s_delay_alu instid0(VALU_DEP_1)
	v_cmp_eq_u32_e32 vcc_lo, s3, v24
	v_mov_b32_e32 v24, s3
	s_cbranch_vccnz .LBB6_52
; %bb.123:                              ;   in Loop: Header=BB6_53 Depth=2
	s_and_saveexec_b32 s37, s0
	s_cbranch_execz .LBB6_51
; %bb.124:                              ;   in Loop: Header=BB6_53 Depth=2
	ds_load_b32 v24, v0 offset:16
	v_mov_b32_e32 v28, v1
	s_waitcnt lgkmcnt(0)
	v_readfirstlane_b32 s4, v24
	v_ashrrev_i32_e32 v25, 31, v24
	s_delay_alu instid0(VALU_DEP_2) | instskip(NEXT) | instid1(VALU_DEP_1)
	s_mul_i32 s56, s4, s11
	v_lshlrev_b64 v[24:25], 2, v[24:25]
	s_ashr_i32 s57, s56, 31
	s_delay_alu instid0(SALU_CYCLE_1) | instskip(NEXT) | instid1(SALU_CYCLE_1)
	s_lshl_b64 s[62:63], s[56:57], 2
	s_add_u32 s56, s68, s62
	s_addc_u32 s57, s69, s63
	s_sub_i32 s58, s3, s4
	s_delay_alu instid0(SALU_CYCLE_1) | instskip(SKIP_1) | instid1(SALU_CYCLE_1)
	s_mul_hi_i32 s61, s58, s40
	s_mul_i32 s60, s58, s40
	s_lshl_b64 s[60:61], s[60:61], 2
	s_delay_alu instid0(SALU_CYCLE_1) | instskip(SKIP_4) | instid1(SALU_CYCLE_1)
	s_add_u32 s59, s56, s60
	s_addc_u32 s60, s57, s61
	s_cmp_gt_i32 s58, 0
	s_cselect_b32 s61, -1, 0
	s_add_i32 s4, s58, -1
	s_lshl_b64 s[64:65], s[4:5], 2
	s_mul_i32 s3, s53, s4
	s_mul_hi_u32 s66, s52, s4
	s_mul_i32 s4, s52, s4
	v_add_co_u32 v26, vcc_lo, v24, s64
	s_add_i32 s66, s66, s3
	s_add_u32 s3, s4, s62
	v_add_co_ci_u32_e32 v27, vcc_lo, s65, v25, vcc_lo
	s_addc_u32 s4, s66, s63
	v_add_co_u32 v24, vcc_lo, v37, s3
	v_add_co_ci_u32_e32 v25, vcc_lo, s4, v38, vcc_lo
	v_add_co_u32 v26, vcc_lo, s70, v26
	v_add_co_ci_u32_e32 v27, vcc_lo, s71, v27, vcc_lo
	s_mov_b32 s4, 0
	s_branch .LBB6_126
.LBB6_125:                              ;   in Loop: Header=BB6_126 Depth=3
	v_add_nc_u32_e32 v28, s30, v28
	v_add_co_u32 v24, s3, v24, s48
	s_delay_alu instid0(VALU_DEP_1) | instskip(NEXT) | instid1(VALU_DEP_3)
	v_add_co_ci_u32_e64 v25, s3, s49, v25, s3
	v_cmp_le_i32_e32 vcc_lo, s6, v28
	s_waitcnt vmcnt(0)
	global_store_b32 v[29:30], v35, off
	s_or_b32 s4, vcc_lo, s4
	s_delay_alu instid0(SALU_CYCLE_1)
	s_and_not1_b32 exec_lo, exec_lo, s4
	s_cbranch_execz .LBB6_51
.LBB6_126:                              ;   Parent Loop BB6_7 Depth=1
                                        ;     Parent Loop BB6_53 Depth=2
                                        ; =>    This Loop Header: Depth=3
                                        ;         Child Loop BB6_127 Depth 4
	v_ashrrev_i32_e32 v29, 31, v28
	s_delay_alu instid0(VALU_DEP_2) | instskip(SKIP_1) | instid1(VALU_DEP_2)
	v_dual_mov_b32 v34, v27 :: v_dual_mov_b32 v33, v26
	s_mov_b32 s3, s58
	v_lshlrev_b64 v[29:30], 2, v[28:29]
	s_delay_alu instid0(VALU_DEP_1) | instskip(NEXT) | instid1(VALU_DEP_2)
	v_add_co_u32 v31, vcc_lo, s59, v29
	v_add_co_ci_u32_e32 v32, vcc_lo, s60, v30, vcc_lo
	v_add_co_u32 v29, vcc_lo, s56, v29
	v_add_co_ci_u32_e32 v30, vcc_lo, s57, v30, vcc_lo
	global_load_b32 v35, v[31:32], off
	v_dual_mov_b32 v32, v25 :: v_dual_mov_b32 v31, v24
	s_and_not1_b32 vcc_lo, exec_lo, s61
	s_cbranch_vccnz .LBB6_125
	.p2align	6
.LBB6_127:                              ;   Parent Loop BB6_7 Depth=1
                                        ;     Parent Loop BB6_53 Depth=2
                                        ;       Parent Loop BB6_126 Depth=3
                                        ; =>      This Inner Loop Header: Depth=4
	v_add_co_u32 v41, vcc_lo, v33, s7
	v_add_co_ci_u32_e32 v42, vcc_lo, s31, v34, vcc_lo
	s_mul_i32 s63, s3, s41
	s_mul_hi_u32 s65, s3, s40
	global_load_b32 v43, v[31:32], off
	s_clause 0x1
	global_load_b32 v44, v[41:42], off
	global_load_b32 v45, v[33:34], off
	v_add_co_u32 v33, vcc_lo, v33, -4
	s_mul_i32 s62, s3, s40
	v_add_co_ci_u32_e32 v34, vcc_lo, -1, v34, vcc_lo
	s_add_i32 s63, s65, s63
	s_waitcnt vmcnt(3)
	v_mov_b32_e32 v46, v35
	v_add_co_u32 v31, vcc_lo, v31, s76
	s_lshl_b64 s[62:63], s[62:63], 2
	v_add_co_ci_u32_e32 v32, vcc_lo, s77, v32, vcc_lo
	v_add_co_u32 v41, vcc_lo, v29, s62
	v_add_co_ci_u32_e32 v42, vcc_lo, s63, v30, vcc_lo
	s_add_i32 s64, s3, -1
	s_delay_alu instid0(SALU_CYCLE_1) | instskip(SKIP_4) | instid1(VALU_DEP_2)
	s_cmp_eq_u32 s64, 0
	s_mov_b32 s3, s64
	s_waitcnt vmcnt(0)
	v_mul_f32_e32 v35, v45, v43
	v_mul_f32_e32 v43, v44, v43
	v_fmac_f32_e32 v35, v46, v44
	s_delay_alu instid0(VALU_DEP_2)
	v_fma_f32 v43, v46, v45, -v43
	global_store_b32 v[41:42], v43, off
	s_cbranch_scc0 .LBB6_127
	s_branch .LBB6_125
.LBB6_128:                              ;   in Loop: Header=BB6_53 Depth=2
	s_or_b32 exec_lo, exec_lo, s56
                                        ; implicit-def: $vgpr28
	s_and_not1_saveexec_b32 s3, s64
	s_cbranch_execnz .LBB6_120
	s_branch .LBB6_121
.LBB6_129:                              ;   in Loop: Header=BB6_7 Depth=1
	v_dual_mov_b32 v23, v15 :: v_dual_mov_b32 v22, v14
	v_dual_mov_b32 v21, v13 :: v_dual_mov_b32 v20, v12
	v_mov_b32_e32 v17, v40
	s_branch .LBB6_6
.LBB6_130:                              ;   in Loop: Header=BB6_7 Depth=1
                                        ; implicit-def: $vgpr22_vgpr23
                                        ; implicit-def: $vgpr20_vgpr21
                                        ; implicit-def: $vgpr17
	s_branch .LBB6_133
.LBB6_131:                              ;   in Loop: Header=BB6_133 Depth=2
	s_or_b32 exec_lo, exec_lo, s3
	s_waitcnt_vscnt null, 0x0
	s_barrier
	buffer_gl0_inv
	ds_load_b32 v16, v0
.LBB6_132:                              ;   in Loop: Header=BB6_133 Depth=2
	ds_load_2addr_b32 v[18:19], v0 offset0:5 offset1:7
	s_waitcnt lgkmcnt(0)
	v_cmp_ge_i32_e32 vcc_lo, v16, v18
	v_cmp_gt_i32_e64 s1, s24, v19
	s_delay_alu instid0(VALU_DEP_1)
	s_and_b32 s1, vcc_lo, s1
.LBB6_133:                              ;   Parent Loop BB6_7 Depth=1
                                        ; =>  This Loop Header: Depth=2
                                        ;       Child Loop BB6_142 Depth 3
                                        ;       Child Loop BB6_161 Depth 3
	;; [unrolled: 1-line block ×3, first 2 shown]
                                        ;         Child Loop BB6_208 Depth 4
	s_delay_alu instid0(SALU_CYCLE_1)
	s_and_not1_b32 vcc_lo, exec_lo, s1
	s_cbranch_vccnz .LBB6_210
; %bb.134:                              ;   in Loop: Header=BB6_133 Depth=2
	s_and_saveexec_b32 s4, s2
	s_cbranch_execz .LBB6_203
; %bb.135:                              ;   in Loop: Header=BB6_133 Depth=2
	v_cmp_gt_i32_e32 vcc_lo, v16, v18
	s_mov_b32 s1, 0
	s_cbranch_vccnz .LBB6_139
; %bb.136:                              ;   in Loop: Header=BB6_133 Depth=2
	v_ashrrev_i32_e32 v17, 31, v16
	s_mov_b32 s3, -1
	s_delay_alu instid0(VALU_DEP_1)
	v_dual_mov_b32 v22, v17 :: v_dual_mov_b32 v21, v16
	v_mov_b32_e32 v20, v16
	s_cbranch_execz .LBB6_140
; %bb.137:                              ;   in Loop: Header=BB6_133 Depth=2
	s_and_b32 vcc_lo, exec_lo, s3
	s_cbranch_vccz .LBB6_145
.LBB6_138:                              ;   in Loop: Header=BB6_133 Depth=2
	ds_store_2addr_b32 v0, v20, v16 offset0:1 offset1:4
	s_cbranch_execz .LBB6_146
	s_branch .LBB6_147
.LBB6_139:                              ;   in Loop: Header=BB6_133 Depth=2
	s_mov_b32 s3, 0
                                        ; implicit-def: $vgpr21_vgpr22
	v_mov_b32_e32 v20, v16
.LBB6_140:                              ;   in Loop: Header=BB6_133 Depth=2
	v_ashrrev_i32_e32 v17, 31, v16
	v_mov_b32_e32 v22, v16
	s_delay_alu instid0(VALU_DEP_2) | instskip(NEXT) | instid1(VALU_DEP_1)
	v_lshlrev_b64 v[2:3], 2, v[16:17]
	v_add_co_u32 v4, vcc_lo, s78, v2
	s_delay_alu instid0(VALU_DEP_2)
	v_add_co_ci_u32_e32 v5, vcc_lo, s79, v3, vcc_lo
	v_add_co_u32 v20, vcc_lo, s10, v2
	v_add_co_ci_u32_e32 v21, vcc_lo, s33, v3, vcc_lo
	s_branch .LBB6_142
	.p2align	6
.LBB6_141:                              ;   in Loop: Header=BB6_142 Depth=3
	v_add_nc_u32_e32 v22, -1, v39
	v_add_co_u32 v4, vcc_lo, v4, -4
	v_add_co_ci_u32_e32 v5, vcc_lo, -1, v5, vcc_lo
	s_delay_alu instid0(VALU_DEP_3) | instskip(SKIP_2) | instid1(VALU_DEP_2)
	v_cmp_le_i32_e64 s3, v22, v18
	s_mov_b32 s1, 0
	v_dual_mov_b32 v21, v3 :: v_dual_mov_b32 v20, v2
	s_and_not1_b32 vcc_lo, exec_lo, s3
	s_cbranch_vccz .LBB6_144
.LBB6_142:                              ;   Parent Loop BB6_7 Depth=1
                                        ;     Parent Loop BB6_133 Depth=2
                                        ; =>    This Inner Loop Header: Depth=3
	global_load_b64 v[2:3], v[4:5], off
	global_load_b32 v23, v[20:21], off offset:-4
	s_waitcnt vmcnt(1)
	v_dual_mov_b32 v39, v22 :: v_dual_mul_f32 v2, v3, v2
	s_waitcnt vmcnt(0)
	v_mul_f32_e32 v3, v23, v23
	s_delay_alu instid0(VALU_DEP_2) | instskip(NEXT) | instid1(VALU_DEP_1)
	v_mul_f32_e64 v2, v36, |v2|
	v_cmp_le_f32_e64 s1, |v3|, v2
	v_add_co_u32 v2, vcc_lo, v20, -4
	v_add_co_ci_u32_e32 v3, vcc_lo, -1, v21, vcc_lo
	s_delay_alu instid0(VALU_DEP_3)
	s_and_b32 vcc_lo, exec_lo, s1
	s_cbranch_vccz .LBB6_141
; %bb.143:                              ;   in Loop: Header=BB6_133 Depth=2
	s_mov_b32 s1, -1
                                        ; implicit-def: $vgpr22
                                        ; implicit-def: $vgpr4_vgpr5
	s_delay_alu instid0(VALU_DEP_1)
	v_dual_mov_b32 v21, v3 :: v_dual_mov_b32 v20, v2
.LBB6_144:                              ;   in Loop: Header=BB6_133 Depth=2
	v_mov_b32_e32 v22, v17
	v_dual_mov_b32 v4, v16 :: v_dual_mov_b32 v5, v17
	v_dual_mov_b32 v20, v18 :: v_dual_mov_b32 v21, v16
	s_xor_b32 s3, s1, -1
	s_mov_b32 s1, -1
	s_and_b32 vcc_lo, exec_lo, s3
	s_cbranch_vccnz .LBB6_138
.LBB6_145:                              ;   in Loop: Header=BB6_133 Depth=2
                                        ; implicit-def: $vgpr20
                                        ; implicit-def: $vgpr21_vgpr22
	s_and_not1_b32 vcc_lo, exec_lo, s1
	s_cbranch_vccnz .LBB6_147
.LBB6_146:                              ;   in Loop: Header=BB6_133 Depth=2
	v_dual_mov_b32 v22, v5 :: v_dual_mov_b32 v21, v4
	v_mov_b32_e32 v20, v39
	ds_store_2addr_b32 v0, v39, v16 offset0:1 offset1:4
	global_store_b32 v[2:3], v0, off
.LBB6_147:                              ;   in Loop: Header=BB6_133 Depth=2
	v_lshlrev_b64 v[22:23], 2, v[21:22]
	v_add_nc_u32_e32 v21, -1, v16
	s_mov_b32 s1, exec_lo
	s_delay_alu instid0(VALU_DEP_2) | instskip(NEXT) | instid1(VALU_DEP_3)
	v_add_co_u32 v17, vcc_lo, s18, v22
	v_add_co_ci_u32_e32 v18, vcc_lo, s19, v23, vcc_lo
	global_load_b32 v28, v[17:18], off
	s_waitcnt vmcnt(0)
	ds_store_b32 v0, v28 offset:8
	v_cmpx_ne_u32_e64 v20, v16
	s_xor_b32 s37, exec_lo, s1
	s_cbranch_execz .LBB6_200
; %bb.148:                              ;   in Loop: Header=BB6_133 Depth=2
	s_mov_b32 s1, exec_lo
	v_cmpx_ne_u32_e64 v20, v21
	s_xor_b32 s3, exec_lo, s1
	s_cbranch_execz .LBB6_176
; %bb.149:                              ;   in Loop: Header=BB6_133 Depth=2
	v_add_co_u32 v22, vcc_lo, s42, v22
	v_add_co_ci_u32_e32 v23, vcc_lo, s43, v23, vcc_lo
	v_ashrrev_i32_e32 v21, 31, v20
	s_mov_b32 s56, exec_lo
	global_load_b32 v30, v[17:18], off offset:-4
	global_load_b32 v31, v[22:23], off
	v_lshlrev_b64 v[26:27], 2, v[20:21]
	s_delay_alu instid0(VALU_DEP_1) | instskip(NEXT) | instid1(VALU_DEP_2)
	v_add_co_u32 v24, vcc_lo, s18, v26
	v_add_co_ci_u32_e32 v25, vcc_lo, s19, v27, vcc_lo
	global_load_b32 v29, v[24:25], off
	s_waitcnt vmcnt(1)
	v_dual_sub_f32 v21, v30, v28 :: v_dual_add_f32 v30, v31, v31
	s_delay_alu instid0(VALU_DEP_1) | instskip(SKIP_1) | instid1(VALU_DEP_2)
	v_div_scale_f32 v32, null, v30, v30, v21
	v_div_scale_f32 v35, vcc_lo, v21, v30, v21
	v_rcp_f32_e32 v33, v32
	s_waitcnt_depctr 0xfff
	v_fma_f32 v34, -v32, v33, 1.0
	s_delay_alu instid0(VALU_DEP_1) | instskip(NEXT) | instid1(VALU_DEP_1)
	v_fmac_f32_e32 v33, v34, v33
	v_mul_f32_e32 v34, v35, v33
	s_delay_alu instid0(VALU_DEP_1) | instskip(NEXT) | instid1(VALU_DEP_1)
	v_fma_f32 v41, -v32, v34, v35
	v_fmac_f32_e32 v34, v41, v33
	s_delay_alu instid0(VALU_DEP_1) | instskip(NEXT) | instid1(VALU_DEP_1)
	v_fma_f32 v32, -v32, v34, v35
	v_div_fmas_f32 v32, v32, v33, v34
	s_delay_alu instid0(VALU_DEP_1) | instskip(NEXT) | instid1(VALU_DEP_1)
	v_div_fixup_f32 v21, v32, v30, v21
	v_fma_f32 v30, v21, v21, 1.0
	s_delay_alu instid0(VALU_DEP_1) | instskip(SKIP_1) | instid1(VALU_DEP_2)
	v_mul_f32_e32 v32, 0x4f800000, v30
	v_cmp_gt_f32_e32 vcc_lo, 0xf800000, v30
	v_cndmask_b32_e32 v30, v30, v32, vcc_lo
	s_delay_alu instid0(VALU_DEP_1) | instskip(SKIP_3) | instid1(VALU_DEP_2)
	v_sqrt_f32_e32 v32, v30
	s_waitcnt_depctr 0xfff
	v_add_nc_u32_e32 v33, -1, v32
	v_add_nc_u32_e32 v34, 1, v32
	v_fma_f32 v35, -v33, v32, v30
	s_delay_alu instid0(VALU_DEP_2) | instskip(NEXT) | instid1(VALU_DEP_2)
	v_fma_f32 v41, -v34, v32, v30
	v_cmp_ge_f32_e64 s1, 0, v35
	s_delay_alu instid0(VALU_DEP_1) | instskip(NEXT) | instid1(VALU_DEP_3)
	v_cndmask_b32_e64 v32, v32, v33, s1
	v_cmp_lt_f32_e64 s1, 0, v41
	s_delay_alu instid0(VALU_DEP_1) | instskip(NEXT) | instid1(VALU_DEP_1)
	v_cndmask_b32_e64 v32, v32, v34, s1
	v_mul_f32_e32 v33, 0x37800000, v32
	s_delay_alu instid0(VALU_DEP_1) | instskip(SKIP_1) | instid1(VALU_DEP_2)
	v_cndmask_b32_e32 v32, v32, v33, vcc_lo
	v_cmp_class_f32_e64 vcc_lo, v30, 0x260
	v_cndmask_b32_e32 v30, v32, v30, vcc_lo
	v_cmp_nle_f32_e32 vcc_lo, 0, v21
	s_delay_alu instid0(VALU_DEP_2) | instskip(NEXT) | instid1(VALU_DEP_1)
	v_cndmask_b32_e64 v30, |v30|, -|v30|, vcc_lo
	v_add_f32_e32 v21, v21, v30
	s_delay_alu instid0(VALU_DEP_1) | instskip(SKIP_1) | instid1(VALU_DEP_2)
	v_div_scale_f32 v30, null, v21, v21, v31
	v_div_scale_f32 v34, vcc_lo, v31, v21, v31
	v_rcp_f32_e32 v32, v30
	s_waitcnt_depctr 0xfff
	v_fma_f32 v33, -v30, v32, 1.0
	s_delay_alu instid0(VALU_DEP_1) | instskip(NEXT) | instid1(VALU_DEP_1)
	v_fmac_f32_e32 v32, v33, v32
	v_mul_f32_e32 v33, v34, v32
	s_delay_alu instid0(VALU_DEP_1) | instskip(NEXT) | instid1(VALU_DEP_1)
	v_fma_f32 v35, -v30, v33, v34
	v_fmac_f32_e32 v33, v35, v32
	s_delay_alu instid0(VALU_DEP_1) | instskip(NEXT) | instid1(VALU_DEP_1)
	v_fma_f32 v30, -v30, v33, v34
	v_div_fmas_f32 v30, v30, v32, v33
	s_waitcnt vmcnt(0)
	v_sub_f32_e32 v32, v29, v28
	s_delay_alu instid0(VALU_DEP_2) | instskip(SKIP_1) | instid1(VALU_DEP_2)
	v_div_fixup_f32 v21, v30, v21, v31
	v_dual_mov_b32 v30, 0 :: v_dual_add_nc_u32 v31, 1, v19
	v_add_f32_e32 v19, v32, v21
	ds_store_2addr_b32 v0, v0, v31 offset0:2 offset1:7
	v_cmpx_lt_i32_e64 v20, v16
	s_cbranch_execz .LBB6_175
; %bb.150:                              ;   in Loop: Header=BB6_133 Depth=2
	v_add_co_u32 v30, vcc_lo, s10, v26
	v_add_co_ci_u32_e32 v31, vcc_lo, s33, v27, vcc_lo
	v_mov_b32_e32 v21, 1.0
	v_mov_b32_e32 v33, 0
	s_mov_b32 s57, exec_lo
	global_load_b32 v31, v[30:31], off
	s_waitcnt vmcnt(0)
	v_cmpx_neq_f32_e32 0, v31
	s_cbranch_execz .LBB6_158
; %bb.151:                              ;   in Loop: Header=BB6_133 Depth=2
	v_mov_b32_e32 v33, 1.0
	v_mov_b32_e32 v21, 0
	s_mov_b32 s58, exec_lo
	v_cmpx_neq_f32_e32 0, v19
	s_cbranch_execz .LBB6_157
; %bb.152:                              ;   in Loop: Header=BB6_133 Depth=2
	s_mov_b32 s59, exec_lo
                                        ; implicit-def: $vgpr33
                                        ; implicit-def: $vgpr21
	v_cmpx_ngt_f32_e64 |v31|, |v19|
	s_xor_b32 s59, exec_lo, s59
	s_cbranch_execz .LBB6_154
; %bb.153:                              ;   in Loop: Header=BB6_133 Depth=2
	v_div_scale_f32 v21, null, v19, v19, -v31
	v_div_scale_f32 v32, vcc_lo, -v31, v19, -v31
	s_delay_alu instid0(VALU_DEP_2) | instskip(SKIP_2) | instid1(VALU_DEP_1)
	v_rcp_f32_e32 v28, v21
	s_waitcnt_depctr 0xfff
	v_fma_f32 v30, -v21, v28, 1.0
	v_fmac_f32_e32 v28, v30, v28
	s_delay_alu instid0(VALU_DEP_1) | instskip(NEXT) | instid1(VALU_DEP_1)
	v_mul_f32_e32 v30, v32, v28
	v_fma_f32 v33, -v21, v30, v32
	s_delay_alu instid0(VALU_DEP_1) | instskip(NEXT) | instid1(VALU_DEP_1)
	v_fmac_f32_e32 v30, v33, v28
	v_fma_f32 v21, -v21, v30, v32
	s_delay_alu instid0(VALU_DEP_1) | instskip(NEXT) | instid1(VALU_DEP_1)
	v_div_fmas_f32 v21, v21, v28, v30
	v_div_fixup_f32 v19, v21, v19, -v31
	s_delay_alu instid0(VALU_DEP_1) | instskip(NEXT) | instid1(VALU_DEP_1)
	v_fma_f32 v21, v19, v19, 1.0
	v_mul_f32_e32 v28, 0x4f800000, v21
	v_cmp_gt_f32_e32 vcc_lo, 0xf800000, v21
	s_delay_alu instid0(VALU_DEP_2) | instskip(NEXT) | instid1(VALU_DEP_1)
	v_cndmask_b32_e32 v21, v21, v28, vcc_lo
	v_sqrt_f32_e32 v28, v21
	s_waitcnt_depctr 0xfff
	v_add_nc_u32_e32 v30, -1, v28
	v_add_nc_u32_e32 v32, 1, v28
	s_delay_alu instid0(VALU_DEP_2) | instskip(NEXT) | instid1(VALU_DEP_2)
	v_fma_f32 v33, -v30, v28, v21
	v_fma_f32 v34, -v32, v28, v21
	s_delay_alu instid0(VALU_DEP_2) | instskip(NEXT) | instid1(VALU_DEP_1)
	v_cmp_ge_f32_e64 s1, 0, v33
	v_cndmask_b32_e64 v28, v28, v30, s1
	s_delay_alu instid0(VALU_DEP_3) | instskip(NEXT) | instid1(VALU_DEP_1)
	v_cmp_lt_f32_e64 s1, 0, v34
	v_cndmask_b32_e64 v28, v28, v32, s1
	s_delay_alu instid0(VALU_DEP_1) | instskip(NEXT) | instid1(VALU_DEP_1)
	v_mul_f32_e32 v30, 0x37800000, v28
	v_cndmask_b32_e32 v28, v28, v30, vcc_lo
	v_cmp_class_f32_e64 vcc_lo, v21, 0x260
	s_delay_alu instid0(VALU_DEP_2) | instskip(NEXT) | instid1(VALU_DEP_1)
	v_cndmask_b32_e32 v21, v28, v21, vcc_lo
	v_div_scale_f32 v28, null, v21, v21, 1.0
	s_delay_alu instid0(VALU_DEP_1) | instskip(SKIP_2) | instid1(VALU_DEP_1)
	v_rcp_f32_e32 v30, v28
	s_waitcnt_depctr 0xfff
	v_fma_f32 v32, -v28, v30, 1.0
	v_fmac_f32_e32 v30, v32, v30
	v_div_scale_f32 v32, vcc_lo, 1.0, v21, 1.0
	s_delay_alu instid0(VALU_DEP_1) | instskip(NEXT) | instid1(VALU_DEP_1)
	v_mul_f32_e32 v33, v32, v30
	v_fma_f32 v34, -v28, v33, v32
	s_delay_alu instid0(VALU_DEP_1) | instskip(NEXT) | instid1(VALU_DEP_1)
	v_fmac_f32_e32 v33, v34, v30
	v_fma_f32 v28, -v28, v33, v32
	s_delay_alu instid0(VALU_DEP_1) | instskip(NEXT) | instid1(VALU_DEP_1)
	v_div_fmas_f32 v28, v28, v30, v33
	v_div_fixup_f32 v21, v28, v21, 1.0
	s_delay_alu instid0(VALU_DEP_1)
	v_mul_f32_e32 v33, v19, v21
                                        ; implicit-def: $vgpr19
.LBB6_154:                              ;   in Loop: Header=BB6_133 Depth=2
	s_and_not1_saveexec_b32 s59, s59
	s_cbranch_execz .LBB6_156
; %bb.155:                              ;   in Loop: Header=BB6_133 Depth=2
	v_div_scale_f32 v21, null, v31, v31, -v19
	v_div_scale_f32 v32, vcc_lo, -v19, v31, -v19
	s_delay_alu instid0(VALU_DEP_2) | instskip(SKIP_2) | instid1(VALU_DEP_1)
	v_rcp_f32_e32 v28, v21
	s_waitcnt_depctr 0xfff
	v_fma_f32 v30, -v21, v28, 1.0
	v_fmac_f32_e32 v28, v30, v28
	s_delay_alu instid0(VALU_DEP_1) | instskip(NEXT) | instid1(VALU_DEP_1)
	v_mul_f32_e32 v30, v32, v28
	v_fma_f32 v33, -v21, v30, v32
	s_delay_alu instid0(VALU_DEP_1) | instskip(NEXT) | instid1(VALU_DEP_1)
	v_fmac_f32_e32 v30, v33, v28
	v_fma_f32 v21, -v21, v30, v32
	s_delay_alu instid0(VALU_DEP_1) | instskip(NEXT) | instid1(VALU_DEP_1)
	v_div_fmas_f32 v21, v21, v28, v30
	v_div_fixup_f32 v19, v21, v31, -v19
	s_delay_alu instid0(VALU_DEP_1) | instskip(NEXT) | instid1(VALU_DEP_1)
	v_fma_f32 v21, v19, v19, 1.0
	v_mul_f32_e32 v28, 0x4f800000, v21
	v_cmp_gt_f32_e32 vcc_lo, 0xf800000, v21
	s_delay_alu instid0(VALU_DEP_2) | instskip(NEXT) | instid1(VALU_DEP_1)
	v_cndmask_b32_e32 v21, v21, v28, vcc_lo
	v_sqrt_f32_e32 v28, v21
	s_waitcnt_depctr 0xfff
	v_add_nc_u32_e32 v30, -1, v28
	v_add_nc_u32_e32 v32, 1, v28
	s_delay_alu instid0(VALU_DEP_2) | instskip(NEXT) | instid1(VALU_DEP_2)
	v_fma_f32 v33, -v30, v28, v21
	v_fma_f32 v34, -v32, v28, v21
	s_delay_alu instid0(VALU_DEP_2) | instskip(NEXT) | instid1(VALU_DEP_1)
	v_cmp_ge_f32_e64 s1, 0, v33
	v_cndmask_b32_e64 v28, v28, v30, s1
	s_delay_alu instid0(VALU_DEP_3) | instskip(NEXT) | instid1(VALU_DEP_1)
	v_cmp_lt_f32_e64 s1, 0, v34
	v_cndmask_b32_e64 v28, v28, v32, s1
	s_delay_alu instid0(VALU_DEP_1) | instskip(NEXT) | instid1(VALU_DEP_1)
	v_mul_f32_e32 v30, 0x37800000, v28
	v_cndmask_b32_e32 v28, v28, v30, vcc_lo
	v_cmp_class_f32_e64 vcc_lo, v21, 0x260
	s_delay_alu instid0(VALU_DEP_2) | instskip(NEXT) | instid1(VALU_DEP_1)
	v_cndmask_b32_e32 v21, v28, v21, vcc_lo
	v_div_scale_f32 v28, null, v21, v21, 1.0
	s_delay_alu instid0(VALU_DEP_1) | instskip(SKIP_2) | instid1(VALU_DEP_1)
	v_rcp_f32_e32 v30, v28
	s_waitcnt_depctr 0xfff
	v_fma_f32 v32, -v28, v30, 1.0
	v_fmac_f32_e32 v30, v32, v30
	v_div_scale_f32 v32, vcc_lo, 1.0, v21, 1.0
	s_delay_alu instid0(VALU_DEP_1) | instskip(NEXT) | instid1(VALU_DEP_1)
	v_mul_f32_e32 v33, v32, v30
	v_fma_f32 v34, -v28, v33, v32
	s_delay_alu instid0(VALU_DEP_1) | instskip(NEXT) | instid1(VALU_DEP_1)
	v_fmac_f32_e32 v33, v34, v30
	v_fma_f32 v28, -v28, v33, v32
	s_delay_alu instid0(VALU_DEP_1) | instskip(NEXT) | instid1(VALU_DEP_1)
	v_div_fmas_f32 v28, v28, v30, v33
	v_div_fixup_f32 v33, v28, v21, 1.0
	s_delay_alu instid0(VALU_DEP_1)
	v_mul_f32_e32 v21, v19, v33
.LBB6_156:                              ;   in Loop: Header=BB6_133 Depth=2
	s_or_b32 exec_lo, exec_lo, s59
.LBB6_157:                              ;   in Loop: Header=BB6_133 Depth=2
	s_delay_alu instid0(SALU_CYCLE_1)
	s_or_b32 exec_lo, exec_lo, s58
.LBB6_158:                              ;   in Loop: Header=BB6_133 Depth=2
	s_delay_alu instid0(SALU_CYCLE_1)
	s_or_b32 exec_lo, exec_lo, s57
	global_load_b32 v19, v[24:25], off offset:4
	v_add_f32_e32 v30, v21, v21
	v_add_co_u32 v26, vcc_lo, s70, v26
	v_add_co_ci_u32_e32 v27, vcc_lo, s71, v27, vcc_lo
	v_xor_b32_e32 v32, 0x80000000, v33
	s_mov_b32 s57, exec_lo
	s_waitcnt vmcnt(0)
	v_dual_sub_f32 v19, v19, v29 :: v_dual_add_nc_u32 v28, 1, v20
	s_delay_alu instid0(VALU_DEP_1) | instskip(NEXT) | instid1(VALU_DEP_1)
	v_mul_f32_e32 v19, v33, v19
	v_fma_f32 v19, v31, v30, -v19
	s_delay_alu instid0(VALU_DEP_1)
	v_mul_f32_e64 v30, v19, -v33
	v_fma_f32 v29, v19, -v33, v29
	v_add_co_u32 v33, vcc_lo, v26, s46
	v_fma_f32 v19, v21, v19, -v31
	v_add_co_ci_u32_e32 v34, vcc_lo, s47, v27, vcc_lo
	ds_store_b32 v0, v30 offset:8
	global_store_b32 v[24:25], v29, off
	s_clause 0x1
	global_store_b32 v[26:27], v21, off
	global_store_b32 v[33:34], v32, off offset:-4
	v_cmpx_lt_i32_e64 v28, v16
	s_cbranch_execz .LBB6_174
; %bb.159:                              ;   in Loop: Header=BB6_133 Depth=2
	v_ashrrev_i32_e32 v29, 31, v28
	s_mov_b32 s59, 1
	s_mov_b32 s58, 0
	s_delay_alu instid0(VALU_DEP_1) | instskip(NEXT) | instid1(VALU_DEP_1)
	v_lshlrev_b64 v[28:29], 2, v[28:29]
	v_add_co_u32 v24, vcc_lo, s70, v28
	s_delay_alu instid0(VALU_DEP_2)
	v_add_co_ci_u32_e32 v25, vcc_lo, s71, v29, vcc_lo
	v_add_co_u32 v26, vcc_lo, s42, v28
	v_add_co_ci_u32_e32 v27, vcc_lo, s43, v29, vcc_lo
	v_add_co_u32 v28, vcc_lo, s72, v28
	v_add_co_ci_u32_e32 v29, vcc_lo, s73, v29, vcc_lo
	s_branch .LBB6_161
.LBB6_160:                              ;   in Loop: Header=BB6_161 Depth=3
	global_load_b64 v[41:42], v[28:29], off
	s_add_i32 s59, s59, 1
	v_add_co_u32 v26, vcc_lo, v26, 4
	v_add_co_ci_u32_e32 v27, vcc_lo, 0, v27, vcc_lo
	v_xor_b32_e32 v32, 0x80000000, v34
	s_waitcnt vmcnt(0)
	v_sub_f32_e32 v19, v41, v30
	v_add_co_u32 v41, vcc_lo, v28, 4
	s_delay_alu instid0(VALU_DEP_2) | instskip(SKIP_3) | instid1(VALU_DEP_4)
	v_sub_f32_e32 v30, v42, v19
	v_mul_f32_e32 v21, v21, v31
	v_add_f32_e32 v31, v33, v33
	v_add_co_ci_u32_e32 v42, vcc_lo, 0, v29, vcc_lo
	v_mul_f32_e32 v30, v34, v30
	v_add_co_u32 v43, vcc_lo, v24, s7
	v_add_co_ci_u32_e32 v44, vcc_lo, s31, v25, vcc_lo
	s_delay_alu instid0(VALU_DEP_3) | instskip(SKIP_1) | instid1(VALU_DEP_2)
	v_fma_f32 v31, v21, v31, -v30
	v_add_nc_u32_e32 v30, s59, v20
	v_fma_f32 v35, v31, -v34, v19
	s_delay_alu instid0(VALU_DEP_2)
	v_cmp_ge_i32_e32 vcc_lo, v30, v16
	v_mul_f32_e64 v30, v31, -v34
	v_fma_f32 v19, v33, v31, -v21
	v_mov_b32_e32 v21, v33
	global_store_b32 v[28:29], v35, off
	global_store_b32 v[24:25], v33, off
	v_add_co_u32 v24, s1, v24, 4
	s_delay_alu instid0(VALU_DEP_1)
	v_add_co_ci_u32_e64 v25, s1, 0, v25, s1
	v_dual_mov_b32 v28, v41 :: v_dual_mov_b32 v29, v42
	s_or_b32 s58, vcc_lo, s58
	global_store_b32 v[43:44], v32, off
	s_and_not1_b32 exec_lo, exec_lo, s58
	s_cbranch_execz .LBB6_173
.LBB6_161:                              ;   Parent Loop BB6_7 Depth=1
                                        ;     Parent Loop BB6_133 Depth=2
                                        ; =>    This Inner Loop Header: Depth=3
	global_load_b32 v31, v[26:27], off offset:4
	v_mov_b32_e32 v34, 0
	s_mov_b32 s60, exec_lo
	s_waitcnt vmcnt(0)
	v_dual_mov_b32 v33, 1.0 :: v_dual_mul_f32 v32, v32, v31
	s_delay_alu instid0(VALU_DEP_1)
	v_cmpx_neq_f32_e32 0, v32
	s_cbranch_execz .LBB6_171
; %bb.162:                              ;   in Loop: Header=BB6_161 Depth=3
                                        ; implicit-def: $vgpr34
                                        ; implicit-def: $vgpr33
	s_mov_b32 s1, exec_lo
	v_cmpx_neq_f32_e32 0, v19
	s_xor_b32 s61, exec_lo, s1
	s_cbranch_execz .LBB6_168
; %bb.163:                              ;   in Loop: Header=BB6_161 Depth=3
	s_mov_b32 s62, exec_lo
                                        ; implicit-def: $vgpr34
                                        ; implicit-def: $vgpr33
	v_cmpx_ngt_f32_e64 |v32|, |v19|
	s_xor_b32 s62, exec_lo, s62
	s_cbranch_execz .LBB6_165
; %bb.164:                              ;   in Loop: Header=BB6_161 Depth=3
	v_div_scale_f32 v33, null, v19, v19, -v32
	v_div_scale_f32 v41, vcc_lo, -v32, v19, -v32
	s_delay_alu instid0(VALU_DEP_2) | instskip(SKIP_2) | instid1(VALU_DEP_1)
	v_rcp_f32_e32 v34, v33
	s_waitcnt_depctr 0xfff
	v_fma_f32 v35, -v33, v34, 1.0
	v_fmac_f32_e32 v34, v35, v34
	s_delay_alu instid0(VALU_DEP_1) | instskip(NEXT) | instid1(VALU_DEP_1)
	v_mul_f32_e32 v35, v41, v34
	v_fma_f32 v42, -v33, v35, v41
	s_delay_alu instid0(VALU_DEP_1) | instskip(NEXT) | instid1(VALU_DEP_1)
	v_fmac_f32_e32 v35, v42, v34
	v_fma_f32 v33, -v33, v35, v41
	s_delay_alu instid0(VALU_DEP_1) | instskip(NEXT) | instid1(VALU_DEP_1)
	v_div_fmas_f32 v33, v33, v34, v35
	v_div_fixup_f32 v34, v33, v19, -v32
	s_delay_alu instid0(VALU_DEP_1) | instskip(NEXT) | instid1(VALU_DEP_1)
	v_fma_f32 v33, v34, v34, 1.0
	v_mul_f32_e32 v35, 0x4f800000, v33
	v_cmp_gt_f32_e32 vcc_lo, 0xf800000, v33
	s_delay_alu instid0(VALU_DEP_2) | instskip(NEXT) | instid1(VALU_DEP_1)
	v_cndmask_b32_e32 v33, v33, v35, vcc_lo
	v_sqrt_f32_e32 v35, v33
	s_waitcnt_depctr 0xfff
	v_add_nc_u32_e32 v41, -1, v35
	v_add_nc_u32_e32 v42, 1, v35
	s_delay_alu instid0(VALU_DEP_2) | instskip(NEXT) | instid1(VALU_DEP_2)
	v_fma_f32 v43, -v41, v35, v33
	v_fma_f32 v44, -v42, v35, v33
	s_delay_alu instid0(VALU_DEP_2) | instskip(NEXT) | instid1(VALU_DEP_1)
	v_cmp_ge_f32_e64 s1, 0, v43
	v_cndmask_b32_e64 v35, v35, v41, s1
	s_delay_alu instid0(VALU_DEP_3) | instskip(NEXT) | instid1(VALU_DEP_1)
	v_cmp_lt_f32_e64 s1, 0, v44
	v_cndmask_b32_e64 v35, v35, v42, s1
	s_delay_alu instid0(VALU_DEP_1) | instskip(NEXT) | instid1(VALU_DEP_1)
	v_mul_f32_e32 v41, 0x37800000, v35
	v_cndmask_b32_e32 v35, v35, v41, vcc_lo
	v_cmp_class_f32_e64 vcc_lo, v33, 0x260
	s_delay_alu instid0(VALU_DEP_2) | instskip(NEXT) | instid1(VALU_DEP_1)
	v_cndmask_b32_e32 v33, v35, v33, vcc_lo
	v_div_scale_f32 v35, null, v33, v33, 1.0
	s_delay_alu instid0(VALU_DEP_1) | instskip(SKIP_2) | instid1(VALU_DEP_1)
	v_rcp_f32_e32 v41, v35
	s_waitcnt_depctr 0xfff
	v_fma_f32 v42, -v35, v41, 1.0
	v_fmac_f32_e32 v41, v42, v41
	v_div_scale_f32 v42, vcc_lo, 1.0, v33, 1.0
	s_delay_alu instid0(VALU_DEP_1) | instskip(NEXT) | instid1(VALU_DEP_1)
	v_mul_f32_e32 v43, v42, v41
	v_fma_f32 v44, -v35, v43, v42
	s_delay_alu instid0(VALU_DEP_1) | instskip(NEXT) | instid1(VALU_DEP_1)
	v_fmac_f32_e32 v43, v44, v41
	v_fma_f32 v35, -v35, v43, v42
	s_delay_alu instid0(VALU_DEP_1) | instskip(NEXT) | instid1(VALU_DEP_1)
	v_div_fmas_f32 v35, v35, v41, v43
	v_div_fixup_f32 v33, v35, v33, 1.0
	s_delay_alu instid0(VALU_DEP_1)
	v_mul_f32_e32 v34, v34, v33
.LBB6_165:                              ;   in Loop: Header=BB6_161 Depth=3
	s_and_not1_saveexec_b32 s62, s62
	s_cbranch_execz .LBB6_167
; %bb.166:                              ;   in Loop: Header=BB6_161 Depth=3
	v_div_scale_f32 v33, null, v32, v32, -v19
	v_div_scale_f32 v41, vcc_lo, -v19, v32, -v19
	s_delay_alu instid0(VALU_DEP_2) | instskip(SKIP_2) | instid1(VALU_DEP_1)
	v_rcp_f32_e32 v34, v33
	s_waitcnt_depctr 0xfff
	v_fma_f32 v35, -v33, v34, 1.0
	v_fmac_f32_e32 v34, v35, v34
	s_delay_alu instid0(VALU_DEP_1) | instskip(NEXT) | instid1(VALU_DEP_1)
	v_mul_f32_e32 v35, v41, v34
	v_fma_f32 v42, -v33, v35, v41
	s_delay_alu instid0(VALU_DEP_1) | instskip(NEXT) | instid1(VALU_DEP_1)
	v_fmac_f32_e32 v35, v42, v34
	v_fma_f32 v33, -v33, v35, v41
	s_delay_alu instid0(VALU_DEP_1) | instskip(NEXT) | instid1(VALU_DEP_1)
	v_div_fmas_f32 v33, v33, v34, v35
	v_div_fixup_f32 v33, v33, v32, -v19
	s_delay_alu instid0(VALU_DEP_1) | instskip(NEXT) | instid1(VALU_DEP_1)
	v_fma_f32 v34, v33, v33, 1.0
	v_mul_f32_e32 v35, 0x4f800000, v34
	v_cmp_gt_f32_e32 vcc_lo, 0xf800000, v34
	s_delay_alu instid0(VALU_DEP_2) | instskip(NEXT) | instid1(VALU_DEP_1)
	v_cndmask_b32_e32 v34, v34, v35, vcc_lo
	v_sqrt_f32_e32 v35, v34
	s_waitcnt_depctr 0xfff
	v_add_nc_u32_e32 v41, -1, v35
	v_add_nc_u32_e32 v42, 1, v35
	s_delay_alu instid0(VALU_DEP_2) | instskip(NEXT) | instid1(VALU_DEP_2)
	v_fma_f32 v43, -v41, v35, v34
	v_fma_f32 v44, -v42, v35, v34
	s_delay_alu instid0(VALU_DEP_2) | instskip(NEXT) | instid1(VALU_DEP_1)
	v_cmp_ge_f32_e64 s1, 0, v43
	v_cndmask_b32_e64 v35, v35, v41, s1
	s_delay_alu instid0(VALU_DEP_3) | instskip(NEXT) | instid1(VALU_DEP_1)
	v_cmp_lt_f32_e64 s1, 0, v44
	v_cndmask_b32_e64 v35, v35, v42, s1
	s_delay_alu instid0(VALU_DEP_1) | instskip(NEXT) | instid1(VALU_DEP_1)
	v_mul_f32_e32 v41, 0x37800000, v35
	v_cndmask_b32_e32 v35, v35, v41, vcc_lo
	v_cmp_class_f32_e64 vcc_lo, v34, 0x260
	s_delay_alu instid0(VALU_DEP_2) | instskip(NEXT) | instid1(VALU_DEP_1)
	v_cndmask_b32_e32 v34, v35, v34, vcc_lo
	v_div_scale_f32 v35, null, v34, v34, 1.0
	s_delay_alu instid0(VALU_DEP_1) | instskip(SKIP_2) | instid1(VALU_DEP_1)
	v_rcp_f32_e32 v41, v35
	s_waitcnt_depctr 0xfff
	v_fma_f32 v42, -v35, v41, 1.0
	v_fmac_f32_e32 v41, v42, v41
	v_div_scale_f32 v42, vcc_lo, 1.0, v34, 1.0
	s_delay_alu instid0(VALU_DEP_1) | instskip(NEXT) | instid1(VALU_DEP_1)
	v_mul_f32_e32 v43, v42, v41
	v_fma_f32 v44, -v35, v43, v42
	s_delay_alu instid0(VALU_DEP_1) | instskip(NEXT) | instid1(VALU_DEP_1)
	v_fmac_f32_e32 v43, v44, v41
	v_fma_f32 v35, -v35, v43, v42
	s_delay_alu instid0(VALU_DEP_1) | instskip(NEXT) | instid1(VALU_DEP_1)
	v_div_fmas_f32 v35, v35, v41, v43
	v_div_fixup_f32 v34, v35, v34, 1.0
	s_delay_alu instid0(VALU_DEP_1)
	v_mul_f32_e32 v33, v33, v34
.LBB6_167:                              ;   in Loop: Header=BB6_161 Depth=3
	s_or_b32 exec_lo, exec_lo, s62
	s_delay_alu instid0(VALU_DEP_1) | instskip(NEXT) | instid1(VALU_DEP_1)
	v_mul_f32_e32 v32, v32, v34
	v_fma_f32 v19, v19, v33, -v32
                                        ; implicit-def: $vgpr32
.LBB6_168:                              ;   in Loop: Header=BB6_161 Depth=3
	s_and_not1_saveexec_b32 s1, s61
; %bb.169:                              ;   in Loop: Header=BB6_161 Depth=3
	v_xor_b32_e32 v19, 0x80000000, v32
	v_dual_mov_b32 v34, 1.0 :: v_dual_mov_b32 v33, 0
; %bb.170:                              ;   in Loop: Header=BB6_161 Depth=3
	s_or_b32 exec_lo, exec_lo, s1
.LBB6_171:                              ;   in Loop: Header=BB6_161 Depth=3
	s_delay_alu instid0(SALU_CYCLE_1)
	s_or_b32 exec_lo, exec_lo, s60
	s_cmp_eq_u32 s59, 0
	s_cbranch_scc1 .LBB6_160
; %bb.172:                              ;   in Loop: Header=BB6_161 Depth=3
	global_store_b32 v[26:27], v19, off
	s_branch .LBB6_160
.LBB6_173:                              ;   in Loop: Header=BB6_133 Depth=2
	s_or_b32 exec_lo, exec_lo, s58
	ds_store_b32 v0, v30 offset:8
.LBB6_174:                              ;   in Loop: Header=BB6_133 Depth=2
	s_or_b32 exec_lo, exec_lo, s57
	global_load_b32 v28, v[17:18], off
.LBB6_175:                              ;   in Loop: Header=BB6_133 Depth=2
	s_or_b32 exec_lo, exec_lo, s56
	s_waitcnt vmcnt(0)
	v_sub_f32_e32 v16, v28, v30
                                        ; implicit-def: $vgpr28
                                        ; implicit-def: $vgpr20
	global_store_b32 v[17:18], v16, off
	global_store_b32 v[22:23], v19, off
                                        ; implicit-def: $vgpr17_vgpr18
                                        ; implicit-def: $vgpr22_vgpr23
                                        ; implicit-def: $vgpr16
.LBB6_176:                              ;   in Loop: Header=BB6_133 Depth=2
	s_and_not1_saveexec_b32 s56, s3
	s_cbranch_execz .LBB6_209
; %bb.177:                              ;   in Loop: Header=BB6_133 Depth=2
	v_ashrrev_i32_e32 v21, 31, v20
	s_mov_b32 s3, exec_lo
	s_delay_alu instid0(VALU_DEP_1) | instskip(NEXT) | instid1(VALU_DEP_1)
	v_lshlrev_b64 v[19:20], 2, v[20:21]
	v_add_co_u32 v24, vcc_lo, s10, v19
	s_delay_alu instid0(VALU_DEP_2)
	v_add_co_ci_u32_e32 v25, vcc_lo, s33, v20, vcc_lo
	v_add_co_u32 v26, vcc_lo, s18, v19
	v_add_co_ci_u32_e32 v27, vcc_lo, s19, v20, vcc_lo
	global_load_b32 v29, v[24:25], off
	global_load_b32 v24, v[26:27], off
                                        ; implicit-def: $vgpr27
	s_waitcnt vmcnt(0)
	v_dual_add_f32 v21, v29, v29 :: v_dual_sub_f32 v26, v24, v28
	s_delay_alu instid0(VALU_DEP_1) | instskip(NEXT) | instid1(VALU_DEP_2)
	v_and_b32_e32 v25, 0x7fffffff, v21
	v_cmpx_ngt_f32_e64 |v26|, |v21|
	s_xor_b32 s3, exec_lo, s3
	s_cbranch_execz .LBB6_183
; %bb.178:                              ;   in Loop: Header=BB6_133 Depth=2
	v_cmp_nlt_f32_e64 s1, |v26|, |v21|
                                        ; implicit-def: $vgpr27
	s_delay_alu instid0(VALU_DEP_1) | instskip(NEXT) | instid1(SALU_CYCLE_1)
	s_and_saveexec_b32 s57, s1
	s_xor_b32 s1, exec_lo, s57
; %bb.179:                              ;   in Loop: Header=BB6_133 Depth=2
	v_cvt_f64_f32_e32 v[30:31], v25
                                        ; implicit-def: $vgpr25
	s_delay_alu instid0(VALU_DEP_1) | instskip(NEXT) | instid1(VALU_DEP_1)
	v_mul_f64 v[30:31], v[30:31], s[54:55]
	v_cvt_f32_f64_e32 v27, v[30:31]
; %bb.180:                              ;   in Loop: Header=BB6_133 Depth=2
	s_and_not1_saveexec_b32 s57, s1
	s_cbranch_execz .LBB6_182
; %bb.181:                              ;   in Loop: Header=BB6_133 Depth=2
	v_and_b32_e32 v27, 0x7fffffff, v26
	s_delay_alu instid0(VALU_DEP_1) | instskip(SKIP_1) | instid1(VALU_DEP_2)
	v_div_scale_f32 v30, null, v25, v25, v27
	v_div_scale_f32 v25, vcc_lo, v27, v25, v27
	v_rcp_f32_e32 v31, v30
	s_waitcnt_depctr 0xfff
	v_fma_f32 v32, -v30, v31, 1.0
	s_delay_alu instid0(VALU_DEP_1) | instskip(NEXT) | instid1(VALU_DEP_1)
	v_fmac_f32_e32 v31, v32, v31
	v_mul_f32_e32 v27, v25, v31
	s_delay_alu instid0(VALU_DEP_1) | instskip(NEXT) | instid1(VALU_DEP_1)
	v_fma_f32 v32, -v30, v27, v25
	v_fmac_f32_e32 v27, v32, v31
	s_delay_alu instid0(VALU_DEP_1) | instskip(NEXT) | instid1(VALU_DEP_1)
	v_fma_f32 v25, -v30, v27, v25
	v_div_fmas_f32 v25, v25, v31, v27
	s_delay_alu instid0(VALU_DEP_1) | instskip(NEXT) | instid1(VALU_DEP_1)
	v_div_fixup_f32 v25, v25, |v21|, |v26|
	v_fma_f32 v25, v25, v25, 1.0
	s_delay_alu instid0(VALU_DEP_1) | instskip(SKIP_1) | instid1(VALU_DEP_2)
	v_mul_f32_e32 v27, 0x4f800000, v25
	v_cmp_gt_f32_e32 vcc_lo, 0xf800000, v25
	v_cndmask_b32_e32 v25, v25, v27, vcc_lo
	s_delay_alu instid0(VALU_DEP_1) | instskip(SKIP_3) | instid1(VALU_DEP_2)
	v_sqrt_f32_e32 v27, v25
	s_waitcnt_depctr 0xfff
	v_add_nc_u32_e32 v30, -1, v27
	v_add_nc_u32_e32 v31, 1, v27
	v_fma_f32 v32, -v30, v27, v25
	s_delay_alu instid0(VALU_DEP_2) | instskip(NEXT) | instid1(VALU_DEP_2)
	v_fma_f32 v33, -v31, v27, v25
	v_cmp_ge_f32_e64 s1, 0, v32
	s_delay_alu instid0(VALU_DEP_1) | instskip(NEXT) | instid1(VALU_DEP_3)
	v_cndmask_b32_e64 v27, v27, v30, s1
	v_cmp_lt_f32_e64 s1, 0, v33
	s_delay_alu instid0(VALU_DEP_1) | instskip(NEXT) | instid1(VALU_DEP_1)
	v_cndmask_b32_e64 v27, v27, v31, s1
	v_mul_f32_e32 v30, 0x37800000, v27
	s_delay_alu instid0(VALU_DEP_1) | instskip(SKIP_1) | instid1(VALU_DEP_2)
	v_cndmask_b32_e32 v27, v27, v30, vcc_lo
	v_cmp_class_f32_e64 vcc_lo, v25, 0x260
	v_cndmask_b32_e32 v25, v27, v25, vcc_lo
	s_delay_alu instid0(VALU_DEP_1)
	v_mul_f32_e64 v27, |v21|, v25
.LBB6_182:                              ;   in Loop: Header=BB6_133 Depth=2
	s_or_b32 exec_lo, exec_lo, s57
                                        ; implicit-def: $vgpr25
.LBB6_183:                              ;   in Loop: Header=BB6_133 Depth=2
	s_and_not1_saveexec_b32 s3, s3
	s_cbranch_execz .LBB6_185
; %bb.184:                              ;   in Loop: Header=BB6_133 Depth=2
	v_and_b32_e32 v27, 0x7fffffff, v26
	s_delay_alu instid0(VALU_DEP_1) | instskip(SKIP_1) | instid1(VALU_DEP_2)
	v_div_scale_f32 v30, null, v27, v27, v25
	v_div_scale_f32 v25, vcc_lo, v25, v27, v25
	v_rcp_f32_e32 v31, v30
	s_waitcnt_depctr 0xfff
	v_fma_f32 v32, -v30, v31, 1.0
	s_delay_alu instid0(VALU_DEP_1) | instskip(NEXT) | instid1(VALU_DEP_1)
	v_fmac_f32_e32 v31, v32, v31
	v_mul_f32_e32 v27, v25, v31
	s_delay_alu instid0(VALU_DEP_1) | instskip(NEXT) | instid1(VALU_DEP_1)
	v_fma_f32 v32, -v30, v27, v25
	v_fmac_f32_e32 v27, v32, v31
	s_delay_alu instid0(VALU_DEP_1) | instskip(NEXT) | instid1(VALU_DEP_1)
	v_fma_f32 v25, -v30, v27, v25
	v_div_fmas_f32 v25, v25, v31, v27
	s_delay_alu instid0(VALU_DEP_1) | instskip(NEXT) | instid1(VALU_DEP_1)
	v_div_fixup_f32 v25, v25, |v26|, |v21|
	v_fma_f32 v25, v25, v25, 1.0
	s_delay_alu instid0(VALU_DEP_1) | instskip(SKIP_1) | instid1(VALU_DEP_2)
	v_mul_f32_e32 v27, 0x4f800000, v25
	v_cmp_gt_f32_e32 vcc_lo, 0xf800000, v25
	v_cndmask_b32_e32 v25, v25, v27, vcc_lo
	s_delay_alu instid0(VALU_DEP_1) | instskip(SKIP_3) | instid1(VALU_DEP_2)
	v_sqrt_f32_e32 v27, v25
	s_waitcnt_depctr 0xfff
	v_add_nc_u32_e32 v30, -1, v27
	v_add_nc_u32_e32 v31, 1, v27
	v_fma_f32 v32, -v30, v27, v25
	s_delay_alu instid0(VALU_DEP_2) | instskip(NEXT) | instid1(VALU_DEP_2)
	v_fma_f32 v33, -v31, v27, v25
	v_cmp_ge_f32_e64 s1, 0, v32
	s_delay_alu instid0(VALU_DEP_1) | instskip(NEXT) | instid1(VALU_DEP_3)
	v_cndmask_b32_e64 v27, v27, v30, s1
	v_cmp_lt_f32_e64 s1, 0, v33
	s_delay_alu instid0(VALU_DEP_1) | instskip(NEXT) | instid1(VALU_DEP_1)
	v_cndmask_b32_e64 v27, v27, v31, s1
	v_mul_f32_e32 v30, 0x37800000, v27
	s_delay_alu instid0(VALU_DEP_1) | instskip(SKIP_1) | instid1(VALU_DEP_2)
	v_cndmask_b32_e32 v27, v27, v30, vcc_lo
	v_cmp_class_f32_e64 vcc_lo, v25, 0x260
	v_cndmask_b32_e32 v25, v27, v25, vcc_lo
	s_delay_alu instid0(VALU_DEP_1)
	v_mul_f32_e64 v27, |v26|, v25
.LBB6_185:                              ;   in Loop: Header=BB6_133 Depth=2
	s_or_b32 exec_lo, exec_lo, s3
	v_cmp_gt_f32_e64 vcc_lo, |v24|, |v28|
	v_add_f32_e32 v31, v28, v24
                                        ; implicit-def: $vgpr25
	s_mov_b32 s1, exec_lo
	v_cndmask_b32_e32 v30, v24, v28, vcc_lo
	v_cndmask_b32_e32 v32, v28, v24, vcc_lo
                                        ; implicit-def: $vgpr28
	s_delay_alu instid0(VALU_DEP_3)
	v_cmpx_ngt_f32_e32 0, v31
	s_xor_b32 s3, exec_lo, s1
	s_cbranch_execz .LBB6_191
; %bb.186:                              ;   in Loop: Header=BB6_133 Depth=2
	s_mov_b32 s57, exec_lo
                                        ; implicit-def: $sgpr1
                                        ; implicit-def: $vgpr25
	v_cmpx_nlt_f32_e32 0, v31
	s_xor_b32 s57, exec_lo, s57
; %bb.187:                              ;   in Loop: Header=BB6_133 Depth=2
	v_mul_f32_e32 v24, 0.5, v27
	v_mul_f32_e32 v25, -0.5, v27
	s_mov_b32 s1, 1
                                        ; implicit-def: $vgpr31
                                        ; implicit-def: $vgpr32
                                        ; implicit-def: $vgpr30
                                        ; implicit-def: $vgpr29
; %bb.188:                              ;   in Loop: Header=BB6_133 Depth=2
	s_or_saveexec_b32 s57, s57
	v_mov_b32_e32 v28, s1
	s_xor_b32 exec_lo, exec_lo, s57
	s_cbranch_execz .LBB6_190
; %bb.189:                              ;   in Loop: Header=BB6_133 Depth=2
	v_add_f32_e32 v24, v31, v27
	v_cvt_f64_f32_e32 v[31:32], v32
	v_cvt_f64_f32_e32 v[28:29], v29
	s_delay_alu instid0(VALU_DEP_3) | instskip(NEXT) | instid1(VALU_DEP_1)
	v_mul_f32_e32 v24, 0.5, v24
	v_cvt_f64_f32_e32 v[33:34], v24
	s_delay_alu instid0(VALU_DEP_1) | instskip(NEXT) | instid1(VALU_DEP_4)
	v_div_scale_f64 v[41:42], null, v[33:34], v[33:34], v[31:32]
	v_div_scale_f64 v[43:44], null, v[33:34], v[33:34], v[28:29]
	v_div_scale_f64 v[53:54], vcc_lo, v[31:32], v[33:34], v[31:32]
	s_delay_alu instid0(VALU_DEP_3) | instskip(NEXT) | instid1(VALU_DEP_2)
	v_rcp_f64_e32 v[45:46], v[41:42]
	v_rcp_f64_e32 v[47:48], v[43:44]
	s_waitcnt_depctr 0xfff
	v_fma_f64 v[49:50], -v[41:42], v[45:46], 1.0
	v_fma_f64 v[51:52], -v[43:44], v[47:48], 1.0
	s_delay_alu instid0(VALU_DEP_2) | instskip(NEXT) | instid1(VALU_DEP_2)
	v_fma_f64 v[45:46], v[45:46], v[49:50], v[45:46]
	v_fma_f64 v[47:48], v[47:48], v[51:52], v[47:48]
	s_delay_alu instid0(VALU_DEP_2) | instskip(NEXT) | instid1(VALU_DEP_2)
	v_fma_f64 v[49:50], -v[41:42], v[45:46], 1.0
	v_fma_f64 v[51:52], -v[43:44], v[47:48], 1.0
	s_delay_alu instid0(VALU_DEP_2) | instskip(SKIP_1) | instid1(VALU_DEP_3)
	v_fma_f64 v[45:46], v[45:46], v[49:50], v[45:46]
	v_div_scale_f64 v[49:50], s1, v[28:29], v[33:34], v[28:29]
	v_fma_f64 v[47:48], v[47:48], v[51:52], v[47:48]
	s_delay_alu instid0(VALU_DEP_3) | instskip(NEXT) | instid1(VALU_DEP_2)
	v_mul_f64 v[51:52], v[53:54], v[45:46]
	v_mul_f64 v[55:56], v[49:50], v[47:48]
	s_delay_alu instid0(VALU_DEP_2) | instskip(NEXT) | instid1(VALU_DEP_2)
	v_fma_f64 v[41:42], -v[41:42], v[51:52], v[53:54]
	v_fma_f64 v[43:44], -v[43:44], v[55:56], v[49:50]
	s_delay_alu instid0(VALU_DEP_2) | instskip(SKIP_1) | instid1(VALU_DEP_2)
	v_div_fmas_f64 v[41:42], v[41:42], v[45:46], v[51:52]
	s_mov_b32 vcc_lo, s1
	v_div_fmas_f64 v[43:44], v[43:44], v[47:48], v[55:56]
	s_delay_alu instid0(VALU_DEP_2) | instskip(NEXT) | instid1(VALU_DEP_2)
	v_div_fixup_f64 v[31:32], v[41:42], v[33:34], v[31:32]
	v_div_fixup_f64 v[43:44], v[43:44], v[33:34], v[28:29]
	v_cvt_f64_f32_e32 v[33:34], v30
	s_delay_alu instid0(VALU_DEP_2) | instskip(NEXT) | instid1(VALU_DEP_1)
	v_mul_f64 v[28:29], v[43:44], v[28:29]
	v_fma_f64 v[28:29], v[31:32], v[33:34], -v[28:29]
	s_delay_alu instid0(VALU_DEP_1)
	v_cvt_f32_f64_e32 v25, v[28:29]
	v_mov_b32_e32 v28, 1
.LBB6_190:                              ;   in Loop: Header=BB6_133 Depth=2
	s_or_b32 exec_lo, exec_lo, s57
                                        ; implicit-def: $vgpr31
                                        ; implicit-def: $vgpr32
                                        ; implicit-def: $vgpr30
                                        ; implicit-def: $vgpr29
.LBB6_191:                              ;   in Loop: Header=BB6_133 Depth=2
	s_and_not1_saveexec_b32 s3, s3
	s_cbranch_execz .LBB6_193
; %bb.192:                              ;   in Loop: Header=BB6_133 Depth=2
	v_sub_f32_e32 v24, v31, v27
	v_cvt_f64_f32_e32 v[31:32], v32
	v_cvt_f64_f32_e32 v[28:29], v29
	s_delay_alu instid0(VALU_DEP_3) | instskip(NEXT) | instid1(VALU_DEP_1)
	v_mul_f32_e32 v24, 0.5, v24
	v_cvt_f64_f32_e32 v[33:34], v24
	s_delay_alu instid0(VALU_DEP_1) | instskip(NEXT) | instid1(VALU_DEP_4)
	v_div_scale_f64 v[41:42], null, v[33:34], v[33:34], v[31:32]
	v_div_scale_f64 v[43:44], null, v[33:34], v[33:34], v[28:29]
	v_div_scale_f64 v[53:54], vcc_lo, v[31:32], v[33:34], v[31:32]
	s_delay_alu instid0(VALU_DEP_3) | instskip(NEXT) | instid1(VALU_DEP_2)
	v_rcp_f64_e32 v[45:46], v[41:42]
	v_rcp_f64_e32 v[47:48], v[43:44]
	s_waitcnt_depctr 0xfff
	v_fma_f64 v[49:50], -v[41:42], v[45:46], 1.0
	v_fma_f64 v[51:52], -v[43:44], v[47:48], 1.0
	s_delay_alu instid0(VALU_DEP_2) | instskip(NEXT) | instid1(VALU_DEP_2)
	v_fma_f64 v[45:46], v[45:46], v[49:50], v[45:46]
	v_fma_f64 v[47:48], v[47:48], v[51:52], v[47:48]
	s_delay_alu instid0(VALU_DEP_2) | instskip(NEXT) | instid1(VALU_DEP_2)
	v_fma_f64 v[49:50], -v[41:42], v[45:46], 1.0
	v_fma_f64 v[51:52], -v[43:44], v[47:48], 1.0
	s_delay_alu instid0(VALU_DEP_2) | instskip(SKIP_1) | instid1(VALU_DEP_3)
	v_fma_f64 v[45:46], v[45:46], v[49:50], v[45:46]
	v_div_scale_f64 v[49:50], s1, v[28:29], v[33:34], v[28:29]
	v_fma_f64 v[47:48], v[47:48], v[51:52], v[47:48]
	s_delay_alu instid0(VALU_DEP_3) | instskip(NEXT) | instid1(VALU_DEP_2)
	v_mul_f64 v[51:52], v[53:54], v[45:46]
	v_mul_f64 v[55:56], v[49:50], v[47:48]
	s_delay_alu instid0(VALU_DEP_2) | instskip(NEXT) | instid1(VALU_DEP_2)
	v_fma_f64 v[41:42], -v[41:42], v[51:52], v[53:54]
	v_fma_f64 v[43:44], -v[43:44], v[55:56], v[49:50]
	s_delay_alu instid0(VALU_DEP_2) | instskip(SKIP_1) | instid1(VALU_DEP_2)
	v_div_fmas_f64 v[41:42], v[41:42], v[45:46], v[51:52]
	s_mov_b32 vcc_lo, s1
	v_div_fmas_f64 v[43:44], v[43:44], v[47:48], v[55:56]
	s_delay_alu instid0(VALU_DEP_2) | instskip(NEXT) | instid1(VALU_DEP_2)
	v_div_fixup_f64 v[31:32], v[41:42], v[33:34], v[31:32]
	v_div_fixup_f64 v[43:44], v[43:44], v[33:34], v[28:29]
	v_cvt_f64_f32_e32 v[33:34], v30
	s_delay_alu instid0(VALU_DEP_2) | instskip(NEXT) | instid1(VALU_DEP_1)
	v_mul_f64 v[28:29], v[43:44], v[28:29]
	v_fma_f64 v[28:29], v[31:32], v[33:34], -v[28:29]
	s_delay_alu instid0(VALU_DEP_1)
	v_cvt_f32_f64_e32 v25, v[28:29]
	v_mov_b32_e32 v28, -1
.LBB6_193:                              ;   in Loop: Header=BB6_133 Depth=2
	s_or_b32 exec_lo, exec_lo, s3
	v_cmp_nle_f32_e64 s1, 0, v26
	s_mov_b32 s57, exec_lo
                                        ; implicit-def: $vgpr29
	s_delay_alu instid0(VALU_DEP_1) | instskip(NEXT) | instid1(VALU_DEP_1)
	v_cndmask_b32_e64 v27, v27, -v27, s1
	v_add_f32_e32 v26, v26, v27
                                        ; implicit-def: $vgpr27
	s_delay_alu instid0(VALU_DEP_1)
	v_cmpx_ngt_f32_e64 |v26|, |v21|
	s_xor_b32 s57, exec_lo, s57
	s_cbranch_execz .LBB6_197
; %bb.194:                              ;   in Loop: Header=BB6_133 Depth=2
	v_mov_b32_e32 v27, 0
	v_mov_b32_e32 v29, 1.0
	s_mov_b32 s58, exec_lo
	v_cmpx_neq_f32_e32 0, v21
	s_cbranch_execz .LBB6_196
; %bb.195:                              ;   in Loop: Header=BB6_133 Depth=2
	v_div_scale_f32 v27, null, v21, v21, -v26
	v_div_scale_f32 v31, vcc_lo, -v26, v21, -v26
	s_delay_alu instid0(VALU_DEP_2) | instskip(SKIP_2) | instid1(VALU_DEP_1)
	v_rcp_f32_e32 v29, v27
	s_waitcnt_depctr 0xfff
	v_fma_f32 v30, -v27, v29, 1.0
	v_fmac_f32_e32 v29, v30, v29
	s_delay_alu instid0(VALU_DEP_1) | instskip(NEXT) | instid1(VALU_DEP_1)
	v_mul_f32_e32 v30, v31, v29
	v_fma_f32 v32, -v27, v30, v31
	s_delay_alu instid0(VALU_DEP_1) | instskip(NEXT) | instid1(VALU_DEP_1)
	v_fmac_f32_e32 v30, v32, v29
	v_fma_f32 v27, -v27, v30, v31
	s_delay_alu instid0(VALU_DEP_1) | instskip(NEXT) | instid1(VALU_DEP_1)
	v_div_fmas_f32 v27, v27, v29, v30
	v_div_fixup_f32 v21, v27, v21, -v26
	s_delay_alu instid0(VALU_DEP_1) | instskip(NEXT) | instid1(VALU_DEP_1)
	v_fma_f32 v26, v21, v21, 1.0
	v_mul_f32_e32 v27, 0x4f800000, v26
	v_cmp_gt_f32_e32 vcc_lo, 0xf800000, v26
	s_delay_alu instid0(VALU_DEP_2) | instskip(NEXT) | instid1(VALU_DEP_1)
	v_cndmask_b32_e32 v26, v26, v27, vcc_lo
	v_sqrt_f32_e32 v27, v26
	s_waitcnt_depctr 0xfff
	v_add_nc_u32_e32 v29, -1, v27
	v_add_nc_u32_e32 v30, 1, v27
	s_delay_alu instid0(VALU_DEP_2) | instskip(NEXT) | instid1(VALU_DEP_2)
	v_fma_f32 v31, -v29, v27, v26
	v_fma_f32 v32, -v30, v27, v26
	s_delay_alu instid0(VALU_DEP_2) | instskip(NEXT) | instid1(VALU_DEP_1)
	v_cmp_ge_f32_e64 s3, 0, v31
	v_cndmask_b32_e64 v27, v27, v29, s3
	s_delay_alu instid0(VALU_DEP_3) | instskip(NEXT) | instid1(VALU_DEP_1)
	v_cmp_lt_f32_e64 s3, 0, v32
	v_cndmask_b32_e64 v27, v27, v30, s3
	s_delay_alu instid0(VALU_DEP_1) | instskip(NEXT) | instid1(VALU_DEP_1)
	v_mul_f32_e32 v29, 0x37800000, v27
	v_cndmask_b32_e32 v27, v27, v29, vcc_lo
	v_cmp_class_f32_e64 vcc_lo, v26, 0x260
	s_delay_alu instid0(VALU_DEP_2) | instskip(NEXT) | instid1(VALU_DEP_1)
	v_cndmask_b32_e32 v26, v27, v26, vcc_lo
	v_div_scale_f32 v27, null, v26, v26, 1.0
	s_delay_alu instid0(VALU_DEP_1) | instskip(SKIP_2) | instid1(VALU_DEP_1)
	v_rcp_f32_e32 v29, v27
	s_waitcnt_depctr 0xfff
	v_fma_f32 v30, -v27, v29, 1.0
	v_fmac_f32_e32 v29, v30, v29
	v_div_scale_f32 v30, vcc_lo, 1.0, v26, 1.0
	s_delay_alu instid0(VALU_DEP_1) | instskip(NEXT) | instid1(VALU_DEP_1)
	v_mul_f32_e32 v31, v30, v29
	v_fma_f32 v32, -v27, v31, v30
	s_delay_alu instid0(VALU_DEP_1) | instskip(NEXT) | instid1(VALU_DEP_1)
	v_fmac_f32_e32 v31, v32, v29
	v_fma_f32 v27, -v27, v31, v30
	s_delay_alu instid0(VALU_DEP_1) | instskip(NEXT) | instid1(VALU_DEP_1)
	v_div_fmas_f32 v27, v27, v29, v31
	v_div_fixup_f32 v29, v27, v26, 1.0
	s_delay_alu instid0(VALU_DEP_1)
	v_mul_f32_e32 v27, v21, v29
.LBB6_196:                              ;   in Loop: Header=BB6_133 Depth=2
	s_or_b32 exec_lo, exec_lo, s58
                                        ; implicit-def: $vgpr26
                                        ; implicit-def: $vgpr21
.LBB6_197:                              ;   in Loop: Header=BB6_133 Depth=2
	s_and_not1_saveexec_b32 s57, s57
	s_cbranch_execz .LBB6_199
; %bb.198:                              ;   in Loop: Header=BB6_133 Depth=2
	v_div_scale_f32 v27, null, v26, v26, -v21
	v_div_scale_f32 v31, vcc_lo, -v21, v26, -v21
	s_delay_alu instid0(VALU_DEP_2) | instskip(SKIP_2) | instid1(VALU_DEP_1)
	v_rcp_f32_e32 v29, v27
	s_waitcnt_depctr 0xfff
	v_fma_f32 v30, -v27, v29, 1.0
	v_fmac_f32_e32 v29, v30, v29
	s_delay_alu instid0(VALU_DEP_1) | instskip(NEXT) | instid1(VALU_DEP_1)
	v_mul_f32_e32 v30, v31, v29
	v_fma_f32 v32, -v27, v30, v31
	s_delay_alu instid0(VALU_DEP_1) | instskip(NEXT) | instid1(VALU_DEP_1)
	v_fmac_f32_e32 v30, v32, v29
	v_fma_f32 v27, -v27, v30, v31
	s_delay_alu instid0(VALU_DEP_1) | instskip(NEXT) | instid1(VALU_DEP_1)
	v_div_fmas_f32 v27, v27, v29, v30
	v_div_fixup_f32 v21, v27, v26, -v21
	s_delay_alu instid0(VALU_DEP_1) | instskip(NEXT) | instid1(VALU_DEP_1)
	v_fma_f32 v26, v21, v21, 1.0
	v_mul_f32_e32 v27, 0x4f800000, v26
	v_cmp_gt_f32_e32 vcc_lo, 0xf800000, v26
	s_delay_alu instid0(VALU_DEP_2) | instskip(NEXT) | instid1(VALU_DEP_1)
	v_cndmask_b32_e32 v26, v26, v27, vcc_lo
	v_sqrt_f32_e32 v27, v26
	s_waitcnt_depctr 0xfff
	v_add_nc_u32_e32 v29, -1, v27
	v_add_nc_u32_e32 v30, 1, v27
	s_delay_alu instid0(VALU_DEP_2) | instskip(NEXT) | instid1(VALU_DEP_2)
	v_fma_f32 v31, -v29, v27, v26
	v_fma_f32 v32, -v30, v27, v26
	s_delay_alu instid0(VALU_DEP_2) | instskip(NEXT) | instid1(VALU_DEP_1)
	v_cmp_ge_f32_e64 s3, 0, v31
	v_cndmask_b32_e64 v27, v27, v29, s3
	s_delay_alu instid0(VALU_DEP_3) | instskip(NEXT) | instid1(VALU_DEP_1)
	v_cmp_lt_f32_e64 s3, 0, v32
	v_cndmask_b32_e64 v27, v27, v30, s3
	s_delay_alu instid0(VALU_DEP_1) | instskip(NEXT) | instid1(VALU_DEP_1)
	v_mul_f32_e32 v29, 0x37800000, v27
	v_cndmask_b32_e32 v27, v27, v29, vcc_lo
	v_cmp_class_f32_e64 vcc_lo, v26, 0x260
	s_delay_alu instid0(VALU_DEP_2) | instskip(NEXT) | instid1(VALU_DEP_1)
	v_cndmask_b32_e32 v26, v27, v26, vcc_lo
	v_div_scale_f32 v27, null, v26, v26, 1.0
	s_delay_alu instid0(VALU_DEP_1) | instskip(SKIP_2) | instid1(VALU_DEP_1)
	v_rcp_f32_e32 v29, v27
	s_waitcnt_depctr 0xfff
	v_fma_f32 v30, -v27, v29, 1.0
	v_fmac_f32_e32 v29, v30, v29
	v_div_scale_f32 v30, vcc_lo, 1.0, v26, 1.0
	s_delay_alu instid0(VALU_DEP_1) | instskip(NEXT) | instid1(VALU_DEP_1)
	v_mul_f32_e32 v31, v30, v29
	v_fma_f32 v32, -v27, v31, v30
	s_delay_alu instid0(VALU_DEP_1) | instskip(NEXT) | instid1(VALU_DEP_1)
	v_fmac_f32_e32 v31, v32, v29
	v_fma_f32 v27, -v27, v31, v30
	s_delay_alu instid0(VALU_DEP_1) | instskip(NEXT) | instid1(VALU_DEP_1)
	v_div_fmas_f32 v27, v27, v29, v31
	v_div_fixup_f32 v27, v27, v26, 1.0
	s_delay_alu instid0(VALU_DEP_1)
	v_mul_f32_e32 v29, v21, v27
.LBB6_199:                              ;   in Loop: Header=BB6_133 Depth=2
	s_or_b32 exec_lo, exec_lo, s57
	v_cndmask_b32_e64 v21, 1, -1, s1
	v_add_co_u32 v19, s1, s70, v19
	s_delay_alu instid0(VALU_DEP_1) | instskip(NEXT) | instid1(VALU_DEP_3)
	v_add_co_ci_u32_e64 v20, s1, s71, v20, s1
	v_cmp_eq_u32_e32 vcc_lo, v28, v21
	v_add_nc_u32_e32 v16, -2, v16
	v_cndmask_b32_e64 v28, v29, -v27, vcc_lo
	v_cndmask_b32_e32 v29, v27, v29, vcc_lo
	v_add_co_u32 v26, vcc_lo, v19, s46
	v_add_co_ci_u32_e32 v27, vcc_lo, s47, v20, vcc_lo
	v_add_co_u32 v21, vcc_lo, s42, v22
	v_add_co_ci_u32_e32 v22, vcc_lo, s43, v23, vcc_lo
	s_clause 0x1
	global_store_b32 v[19:20], v28, off
	global_store_b32 v[26:27], v29, off offset:-4
	global_store_b64 v[17:18], v[24:25], off offset:-4
	global_store_b32 v[21:22], v0, off
	ds_store_b32 v0, v16
	s_or_b32 exec_lo, exec_lo, s56
                                        ; implicit-def: $vgpr21
.LBB6_200:                              ;   in Loop: Header=BB6_133 Depth=2
	s_and_not1_saveexec_b32 s1, s37
	s_cbranch_execz .LBB6_202
.LBB6_201:                              ;   in Loop: Header=BB6_133 Depth=2
	ds_store_b32 v0, v21
.LBB6_202:                              ;   in Loop: Header=BB6_133 Depth=2
	s_or_b32 exec_lo, exec_lo, s1
.LBB6_203:                              ;   in Loop: Header=BB6_133 Depth=2
	s_delay_alu instid0(SALU_CYCLE_1)
	s_or_b32 exec_lo, exec_lo, s4
	s_waitcnt lgkmcnt(0)
	s_waitcnt_vscnt null, 0x0
	s_barrier
	buffer_gl0_inv
	ds_load_b64 v[16:17], v0
	s_waitcnt lgkmcnt(0)
	v_readfirstlane_b32 s56, v17
	s_delay_alu instid0(VALU_DEP_1)
	v_cmp_eq_u32_e32 vcc_lo, s56, v16
	v_mov_b32_e32 v16, s56
	s_cbranch_vccnz .LBB6_132
; %bb.204:                              ;   in Loop: Header=BB6_133 Depth=2
	s_and_saveexec_b32 s3, s0
	s_cbranch_execz .LBB6_131
; %bb.205:                              ;   in Loop: Header=BB6_133 Depth=2
	ds_load_b32 v16, v0 offset:16
	s_ashr_i32 s57, s56, 31
	s_mul_i32 s58, s56, s11
	s_lshl_b64 s[60:61], s[56:57], 2
	v_mov_b32_e32 v18, v1
	s_waitcnt lgkmcnt(0)
	v_readfirstlane_b32 s1, v16
	s_delay_alu instid0(VALU_DEP_1)
	s_sub_i32 s4, s1, s56
	s_add_u32 s56, s70, s60
	s_addc_u32 s57, s71, s61
	s_ashr_i32 s59, s58, 31
	s_mul_hi_i32 s63, s4, s40
	s_lshl_b64 s[58:59], s[58:59], 2
	s_mul_i32 s62, s4, s40
	s_add_u32 s37, s68, s58
	s_addc_u32 s60, s69, s59
	s_cmp_gt_i32 s4, 0
	v_add_co_u32 v16, vcc_lo, v37, s58
	v_add_co_ci_u32_e32 v17, vcc_lo, s59, v38, vcc_lo
	s_cselect_b32 s61, -1, 0
	s_lshl_b64 s[58:59], s[62:63], 2
	s_mov_b32 s62, 0
	s_add_u32 s63, s37, s58
	s_addc_u32 s64, s60, s59
	s_branch .LBB6_207
.LBB6_206:                              ;   in Loop: Header=BB6_207 Depth=3
	v_add_nc_u32_e32 v18, s30, v18
	v_add_co_u32 v19, vcc_lo, s63, v19
	v_add_co_ci_u32_e32 v20, vcc_lo, s64, v20, vcc_lo
	s_delay_alu instid0(VALU_DEP_3) | instskip(SKIP_1) | instid1(VALU_DEP_1)
	v_cmp_le_i32_e32 vcc_lo, s6, v18
	v_add_co_u32 v16, s1, v16, s48
	v_add_co_ci_u32_e64 v17, s1, s49, v17, s1
	s_or_b32 s62, vcc_lo, s62
	s_waitcnt vmcnt(0)
	global_store_b32 v[19:20], v23, off
	s_and_not1_b32 exec_lo, exec_lo, s62
	s_cbranch_execz .LBB6_131
.LBB6_207:                              ;   Parent Loop BB6_7 Depth=1
                                        ;     Parent Loop BB6_133 Depth=2
                                        ; =>    This Loop Header: Depth=3
                                        ;         Child Loop BB6_208 Depth 4
	v_ashrrev_i32_e32 v19, 31, v18
	s_mov_b64 s[58:59], s[56:57]
	s_mov_b32 s1, s4
	s_delay_alu instid0(VALU_DEP_1) | instskip(NEXT) | instid1(VALU_DEP_1)
	v_lshlrev_b64 v[19:20], 2, v[18:19]
	v_add_co_u32 v21, vcc_lo, s37, v19
	s_delay_alu instid0(VALU_DEP_2)
	v_add_co_ci_u32_e32 v22, vcc_lo, s60, v20, vcc_lo
	s_and_not1_b32 vcc_lo, exec_lo, s61
	global_load_b32 v23, v[21:22], off
	v_dual_mov_b32 v22, v17 :: v_dual_mov_b32 v21, v16
	s_cbranch_vccnz .LBB6_206
	.p2align	6
.LBB6_208:                              ;   Parent Loop BB6_7 Depth=1
                                        ;     Parent Loop BB6_133 Depth=2
                                        ;       Parent Loop BB6_207 Depth=3
                                        ; =>      This Inner Loop Header: Depth=4
	s_delay_alu instid0(VALU_DEP_1) | instskip(NEXT) | instid1(VALU_DEP_2)
	v_add_co_u32 v24, vcc_lo, v21, s52
	v_add_co_ci_u32_e32 v25, vcc_lo, s53, v22, vcc_lo
	s_add_u32 s66, s58, s7
	s_addc_u32 s67, s59, s31
	global_load_b32 v26, v0, s[66:67]
	global_load_b32 v27, v[24:25], off
	global_load_b32 v28, v0, s[58:59]
	s_add_i32 s1, s1, -1
	s_add_u32 s58, s58, 4
	s_addc_u32 s59, s59, 0
	s_cmp_eq_u32 s1, 0
	s_waitcnt vmcnt(1)
	v_dual_mul_f32 v29, v26, v27 :: v_dual_mul_f32 v26, v23, v26
	s_waitcnt vmcnt(0)
	s_delay_alu instid0(VALU_DEP_1) | instskip(NEXT) | instid1(VALU_DEP_2)
	v_fmac_f32_e32 v29, v23, v28
	v_fma_f32 v23, v28, v27, -v26
	global_store_b32 v[21:22], v29, off
	v_dual_mov_b32 v21, v24 :: v_dual_mov_b32 v22, v25
	s_cbranch_scc0 .LBB6_208
	s_branch .LBB6_206
.LBB6_209:                              ;   in Loop: Header=BB6_133 Depth=2
	s_or_b32 exec_lo, exec_lo, s56
                                        ; implicit-def: $vgpr21
	s_and_not1_saveexec_b32 s1, s37
	s_cbranch_execnz .LBB6_201
	s_branch .LBB6_202
.LBB6_210:                              ;   in Loop: Header=BB6_7 Depth=1
	v_mov_b32_e32 v23, v15
	v_dual_mov_b32 v17, v40 :: v_dual_mov_b32 v22, v14
	v_dual_mov_b32 v21, v13 :: v_dual_mov_b32 v20, v12
.LBB6_211:                              ;   in Loop: Header=BB6_7 Depth=1
	s_barrier
	buffer_gl0_inv
	ds_load_b32 v18, v0 offset:24
	s_waitcnt lgkmcnt(0)
	v_cmp_nlt_f32_e32 vcc_lo, s27, v18
	s_cbranch_vccnz .LBB6_218
; %bb.212:                              ;   in Loop: Header=BB6_7 Depth=1
	v_div_scale_f32 v14, null, v18, v18, s27
	v_div_scale_f32 v16, vcc_lo, s27, v18, s27
	s_delay_alu instid0(VALU_DEP_2) | instskip(SKIP_2) | instid1(VALU_DEP_1)
	v_rcp_f32_e32 v15, v14
	s_waitcnt_depctr 0xfff
	v_fma_f32 v12, -v14, v15, 1.0
	v_fmac_f32_e32 v15, v12, v15
	ds_load_2addr_b32 v[12:13], v0 offset0:4 offset1:8
	v_mul_f32_e32 v19, v16, v15
	s_delay_alu instid0(VALU_DEP_1) | instskip(NEXT) | instid1(VALU_DEP_1)
	v_fma_f32 v24, -v14, v19, v16
	v_fmac_f32_e32 v19, v24, v15
	s_delay_alu instid0(VALU_DEP_1) | instskip(NEXT) | instid1(VALU_DEP_1)
	v_fma_f32 v14, -v14, v19, v16
	v_div_fmas_f32 v14, v14, v15, v19
	s_delay_alu instid0(VALU_DEP_1)
	v_div_fixup_f32 v19, v14, v18, s27
	s_and_saveexec_b32 s1, s2
	s_cbranch_execz .LBB6_214
; %bb.213:                              ;   in Loop: Header=BB6_7 Depth=1
	s_waitcnt lgkmcnt(0)
	v_ashrrev_i32_e32 v15, 31, v13
	v_mov_b32_e32 v14, v13
	s_delay_alu instid0(VALU_DEP_1) | instskip(NEXT) | instid1(VALU_DEP_1)
	v_lshlrev_b64 v[14:15], 2, v[14:15]
	v_add_co_u32 v14, vcc_lo, s18, v14
	s_delay_alu instid0(VALU_DEP_2)
	v_add_co_ci_u32_e32 v15, vcc_lo, s19, v15, vcc_lo
	global_load_b32 v16, v[14:15], off
	s_waitcnt vmcnt(0)
	v_mul_f32_e32 v16, v19, v16
	global_store_b32 v[14:15], v16, off
.LBB6_214:                              ;   in Loop: Header=BB6_7 Depth=1
	s_or_b32 exec_lo, exec_lo, s1
	s_waitcnt lgkmcnt(0)
	v_add_nc_u32_e32 v14, v12, v1
	s_mov_b32 s3, exec_lo
	s_delay_alu instid0(VALU_DEP_1)
	v_cmpx_lt_i32_e64 v14, v13
	s_cbranch_execz .LBB6_217
; %bb.215:                              ;   in Loop: Header=BB6_7 Depth=1
	v_ashrrev_i32_e32 v15, 31, v14
	s_mov_b32 s4, 0
	s_delay_alu instid0(VALU_DEP_1)
	v_lshlrev_b64 v[15:16], 2, v[14:15]
	.p2align	6
.LBB6_216:                              ;   Parent Loop BB6_7 Depth=1
                                        ; =>  This Inner Loop Header: Depth=2
	s_delay_alu instid0(VALU_DEP_1) | instskip(NEXT) | instid1(VALU_DEP_2)
	v_add_co_u32 v24, vcc_lo, s18, v15
	v_add_co_ci_u32_e32 v25, vcc_lo, s19, v16, vcc_lo
	v_add_co_u32 v26, vcc_lo, s10, v15
	v_add_co_ci_u32_e32 v27, vcc_lo, s33, v16, vcc_lo
	global_load_b32 v12, v[24:25], off
	v_add_nc_u32_e32 v14, s30, v14
	v_add_co_u32 v15, vcc_lo, v15, s48
	v_add_co_ci_u32_e32 v16, vcc_lo, s49, v16, vcc_lo
	s_delay_alu instid0(VALU_DEP_3) | instskip(NEXT) | instid1(VALU_DEP_1)
	v_cmp_ge_i32_e64 s1, v14, v13
	s_or_b32 s4, s1, s4
	s_waitcnt vmcnt(0)
	v_mul_f32_e32 v12, v19, v12
	global_store_b32 v[24:25], v12, off
	global_load_b32 v12, v[26:27], off
	s_waitcnt vmcnt(0)
	v_mul_f32_e32 v12, v19, v12
	global_store_b32 v[26:27], v12, off
	s_and_not1_b32 exec_lo, exec_lo, s4
	s_cbranch_execnz .LBB6_216
.LBB6_217:                              ;   in Loop: Header=BB6_7 Depth=1
	s_or_b32 exec_lo, exec_lo, s3
.LBB6_218:                              ;   in Loop: Header=BB6_7 Depth=1
	v_cmp_ngt_f32_e32 vcc_lo, s26, v18
	s_cbranch_vccnz .LBB6_5
; %bb.219:                              ;   in Loop: Header=BB6_7 Depth=1
	v_div_scale_f32 v14, null, v18, v18, s26
	v_div_scale_f32 v16, vcc_lo, s26, v18, s26
	s_delay_alu instid0(VALU_DEP_2) | instskip(SKIP_2) | instid1(VALU_DEP_1)
	v_rcp_f32_e32 v15, v14
	s_waitcnt_depctr 0xfff
	v_fma_f32 v12, -v14, v15, 1.0
	v_fmac_f32_e32 v15, v12, v15
	ds_load_2addr_b32 v[12:13], v0 offset0:4 offset1:8
	v_mul_f32_e32 v19, v16, v15
	s_delay_alu instid0(VALU_DEP_1) | instskip(NEXT) | instid1(VALU_DEP_1)
	v_fma_f32 v24, -v14, v19, v16
	v_fmac_f32_e32 v19, v24, v15
	s_delay_alu instid0(VALU_DEP_1) | instskip(NEXT) | instid1(VALU_DEP_1)
	v_fma_f32 v14, -v14, v19, v16
	v_div_fmas_f32 v14, v14, v15, v19
	s_delay_alu instid0(VALU_DEP_1)
	v_div_fixup_f32 v18, v14, v18, s26
	s_and_saveexec_b32 s1, s2
	s_cbranch_execz .LBB6_221
; %bb.220:                              ;   in Loop: Header=BB6_7 Depth=1
	s_waitcnt lgkmcnt(0)
	v_ashrrev_i32_e32 v15, 31, v13
	v_mov_b32_e32 v14, v13
	s_delay_alu instid0(VALU_DEP_1) | instskip(NEXT) | instid1(VALU_DEP_1)
	v_lshlrev_b64 v[14:15], 2, v[14:15]
	v_add_co_u32 v14, vcc_lo, s18, v14
	s_delay_alu instid0(VALU_DEP_2)
	v_add_co_ci_u32_e32 v15, vcc_lo, s19, v15, vcc_lo
	global_load_b32 v16, v[14:15], off
	s_waitcnt vmcnt(0)
	v_mul_f32_e32 v16, v18, v16
	global_store_b32 v[14:15], v16, off
.LBB6_221:                              ;   in Loop: Header=BB6_7 Depth=1
	s_or_b32 exec_lo, exec_lo, s1
	s_waitcnt lgkmcnt(0)
	v_add_nc_u32_e32 v14, v12, v1
	s_mov_b32 s3, exec_lo
	s_delay_alu instid0(VALU_DEP_1)
	v_cmpx_lt_i32_e64 v14, v13
	s_cbranch_execz .LBB6_4
; %bb.222:                              ;   in Loop: Header=BB6_7 Depth=1
	v_ashrrev_i32_e32 v15, 31, v14
	s_mov_b32 s4, 0
	s_delay_alu instid0(VALU_DEP_1)
	v_lshlrev_b64 v[15:16], 2, v[14:15]
	.p2align	6
.LBB6_223:                              ;   Parent Loop BB6_7 Depth=1
                                        ; =>  This Inner Loop Header: Depth=2
	s_delay_alu instid0(VALU_DEP_1) | instskip(NEXT) | instid1(VALU_DEP_2)
	v_add_co_u32 v24, vcc_lo, s18, v15
	v_add_co_ci_u32_e32 v25, vcc_lo, s19, v16, vcc_lo
	v_add_co_u32 v26, vcc_lo, s10, v15
	v_add_co_ci_u32_e32 v27, vcc_lo, s33, v16, vcc_lo
	global_load_b32 v12, v[24:25], off
	v_add_nc_u32_e32 v14, s30, v14
	v_add_co_u32 v15, vcc_lo, v15, s48
	v_add_co_ci_u32_e32 v16, vcc_lo, s49, v16, vcc_lo
	s_delay_alu instid0(VALU_DEP_3) | instskip(NEXT) | instid1(VALU_DEP_1)
	v_cmp_ge_i32_e64 s1, v14, v13
	s_or_b32 s4, s1, s4
	s_waitcnt vmcnt(0)
	v_mul_f32_e32 v12, v18, v12
	global_store_b32 v[24:25], v12, off
	global_load_b32 v12, v[26:27], off
	s_waitcnt vmcnt(0)
	v_mul_f32_e32 v12, v18, v12
	global_store_b32 v[26:27], v12, off
	s_and_not1_b32 exec_lo, exec_lo, s4
	s_cbranch_execnz .LBB6_223
	s_branch .LBB6_4
.LBB6_224:
	s_mov_b32 s1, exec_lo
	v_cmpx_gt_i32_e64 s36, v1
	s_cbranch_execz .LBB6_230
; %bb.225:
	v_ashrrev_i32_e32 v2, 31, v1
	s_lshl_b64 s[4:5], s[28:29], 2
	v_mov_b32_e32 v0, 0
	s_add_u32 s4, s14, s4
	s_addc_u32 s5, s15, s5
	v_lshlrev_b64 v[2:3], 2, v[1:2]
	s_lshl_b64 s[14:15], s[38:39], 2
	s_delay_alu instid0(SALU_CYCLE_1) | instskip(SKIP_2) | instid1(VALU_DEP_1)
	s_add_u32 s0, s20, s14
	s_addc_u32 s3, s21, s15
	s_ashr_i32 s31, s30, 31
	v_add_co_u32 v2, vcc_lo, s0, v2
	v_add_co_ci_u32_e32 v3, vcc_lo, s3, v3, vcc_lo
	s_lshl_b64 s[14:15], s[30:31], 2
	s_mov_b32 s3, 0
	s_set_inst_prefetch_distance 0x1
	s_branch .LBB6_227
	.p2align	6
.LBB6_226:                              ;   in Loop: Header=BB6_227 Depth=1
	s_or_b32 exec_lo, exec_lo, s0
	v_add_nc_u32_e32 v1, s30, v1
	v_add_co_u32 v2, s0, v2, s14
	s_delay_alu instid0(VALU_DEP_1) | instskip(NEXT) | instid1(VALU_DEP_3)
	v_add_co_ci_u32_e64 v3, s0, s15, v3, s0
	v_cmp_le_i32_e32 vcc_lo, s36, v1
	s_or_b32 s3, vcc_lo, s3
	s_delay_alu instid0(SALU_CYCLE_1)
	s_and_not1_b32 exec_lo, exec_lo, s3
	s_cbranch_execz .LBB6_230
.LBB6_227:                              ; =>This Inner Loop Header: Depth=1
	global_load_b32 v4, v[2:3], off
	s_mov_b32 s0, exec_lo
	s_waitcnt vmcnt(0)
	v_cmpx_neq_f32_e32 0, v4
	s_cbranch_execz .LBB6_226
; %bb.228:                              ;   in Loop: Header=BB6_227 Depth=1
	s_mov_b32 s7, exec_lo
	s_delay_alu instid0(SALU_CYCLE_1) | instskip(NEXT) | instid1(VALU_DEP_1)
	v_mbcnt_lo_u32_b32 v4, s7, 0
	v_cmp_eq_u32_e32 vcc_lo, 0, v4
	s_and_b32 s10, exec_lo, vcc_lo
	s_delay_alu instid0(SALU_CYCLE_1)
	s_mov_b32 exec_lo, s10
	s_cbranch_execz .LBB6_226
; %bb.229:                              ;   in Loop: Header=BB6_227 Depth=1
	s_bcnt1_i32_b32 s7, s7
	s_delay_alu instid0(SALU_CYCLE_1)
	v_mov_b32_e32 v4, s7
	global_atomic_add_u32 v0, v4, s[4:5]
	s_branch .LBB6_226
.LBB6_230:
	s_set_inst_prefetch_distance 0x2
	s_or_b32 exec_lo, exec_lo, s1
	s_cmp_lt_i32 s6, 2
	s_cbranch_scc1 .LBB6_243
; %bb.231:
	s_add_u32 s3, s18, -4
	s_addc_u32 s7, s19, -1
	s_add_u32 s0, s22, s16
	s_addc_u32 s1, s23, s17
	s_add_u32 s0, s0, 4
	s_addc_u32 s1, s1, 0
	s_lshl_b64 s[4:5], s[12:13], 2
	s_lshl_b64 s[12:13], s[34:35], 2
	v_mov_b32_e32 v0, 0
	s_add_u32 s4, s4, s12
	s_addc_u32 s5, s5, s13
	s_add_u32 s10, s8, s4
	s_addc_u32 s16, s9, s5
	s_mov_b32 s4, 1
	s_branch .LBB6_233
.LBB6_232:                              ;   in Loop: Header=BB6_233 Depth=1
	s_add_i32 s4, s4, 1
	s_add_u32 s0, s0, 4
	s_addc_u32 s1, s1, 0
	s_cmp_lg_u32 s4, s6
	s_waitcnt_vscnt null, 0x0
	s_barrier
	buffer_gl0_inv
	s_cbranch_scc0 .LBB6_243
.LBB6_233:                              ; =>This Loop Header: Depth=1
                                        ;     Child Loop BB6_236 Depth 2
                                        ;     Child Loop BB6_242 Depth 2
	s_and_saveexec_b32 s17, s2
	s_cbranch_execz .LBB6_240
; %bb.234:                              ;   in Loop: Header=BB6_233 Depth=1
	s_ashr_i32 s5, s4, 31
	s_mov_b64 s[12:13], s[0:1]
	s_lshl_b64 s[8:9], s[4:5], 2
	s_add_i32 s5, s4, -1
	s_add_u32 s8, s3, s8
	s_addc_u32 s9, s7, s9
	v_dual_mov_b32 v3, s5 :: v_dual_mov_b32 v4, s5
	global_load_b32 v1, v0, s[8:9]
	s_mov_b32 s14, s5
	s_mov_b32 s15, s4
	ds_store_b64 v0, v[3:4]
	s_waitcnt vmcnt(0)
	ds_store_b32 v0, v1 offset:8
	v_mov_b32_e32 v2, v1
	s_branch .LBB6_236
.LBB6_235:                              ;   in Loop: Header=BB6_236 Depth=2
	s_add_i32 s15, s15, 1
	s_add_u32 s12, s12, 4
	s_addc_u32 s13, s13, 0
	s_cmp_ge_i32 s15, s6
	s_cbranch_scc1 .LBB6_238
.LBB6_236:                              ;   Parent Loop BB6_233 Depth=1
                                        ; =>  This Inner Loop Header: Depth=2
	global_load_b32 v3, v0, s[12:13]
	s_waitcnt vmcnt(0)
	v_cmp_nlt_f32_e32 vcc_lo, v3, v2
	s_cbranch_vccnz .LBB6_235
; %bb.237:                              ;   in Loop: Header=BB6_236 Depth=2
	v_mov_b32_e32 v4, s15
	v_mov_b32_e32 v2, v3
	s_mov_b32 s14, s15
	ds_store_2addr_b32 v0, v4, v3 offset0:1 offset1:2
	s_branch .LBB6_235
.LBB6_238:                              ;   in Loop: Header=BB6_233 Depth=1
	s_cmp_lg_u32 s14, s5
	s_cbranch_scc0 .LBB6_240
; %bb.239:                              ;   in Loop: Header=BB6_233 Depth=1
	s_ashr_i32 s15, s14, 31
	s_delay_alu instid0(SALU_CYCLE_1) | instskip(NEXT) | instid1(SALU_CYCLE_1)
	s_lshl_b64 s[12:13], s[14:15], 2
	s_add_u32 s12, s18, s12
	s_addc_u32 s13, s19, s13
	s_clause 0x1
	global_store_b32 v0, v1, s[12:13]
	global_store_b32 v0, v2, s[8:9]
.LBB6_240:                              ;   in Loop: Header=BB6_233 Depth=1
	s_or_b32 exec_lo, exec_lo, s17
	s_waitcnt lgkmcnt(0)
	s_waitcnt_vscnt null, 0x0
	s_barrier
	buffer_gl0_inv
	ds_load_b64 v[1:2], v0
	s_waitcnt lgkmcnt(0)
	v_readfirstlane_b32 s5, v1
	v_readfirstlane_b32 s8, v2
	s_delay_alu instid0(VALU_DEP_1)
	s_cmp_eq_u32 s8, s5
	s_cbranch_scc1 .LBB6_232
; %bb.241:                              ;   in Loop: Header=BB6_233 Depth=1
	s_mul_i32 s8, s8, s11
	s_mul_i32 s12, s5, s11
	s_ashr_i32 s9, s8, 31
	s_mov_b32 s5, s6
	s_lshl_b64 s[8:9], s[8:9], 2
	s_delay_alu instid0(SALU_CYCLE_1) | instskip(SKIP_2) | instid1(SALU_CYCLE_1)
	s_add_u32 s8, s10, s8
	s_addc_u32 s9, s16, s9
	s_ashr_i32 s13, s12, 31
	s_lshl_b64 s[12:13], s[12:13], 2
	s_delay_alu instid0(SALU_CYCLE_1)
	s_add_u32 s12, s10, s12
	s_addc_u32 s13, s16, s13
.LBB6_242:                              ;   Parent Loop BB6_233 Depth=1
                                        ; =>  This Inner Loop Header: Depth=2
	s_clause 0x1
	global_load_b32 v1, v0, s[8:9]
	global_load_b32 v2, v0, s[12:13]
	s_add_i32 s5, s5, -1
	s_waitcnt vmcnt(1)
	global_store_b32 v0, v1, s[12:13]
	s_waitcnt vmcnt(0)
	global_store_b32 v0, v2, s[8:9]
	s_add_u32 s8, s8, 4
	s_addc_u32 s9, s9, 0
	s_add_u32 s12, s12, 4
	s_addc_u32 s13, s13, 0
	s_cmp_lg_u32 s5, 0
	s_cbranch_scc1 .LBB6_242
	s_branch .LBB6_232
.LBB6_243:
	s_nop 0
	s_sendmsg sendmsg(MSG_DEALLOC_VGPRS)
	s_endpgm
	.section	.rodata,"a",@progbits
	.p2align	6, 0x0
	.amdhsa_kernel _ZN9rocsolver6v33100L12steqr_kernelIffPfEEviPT0_lS4_lT1_iilPiS4_iS3_S3_S3_
		.amdhsa_group_segment_fixed_size 36
		.amdhsa_private_segment_fixed_size 0
		.amdhsa_kernarg_size 352
		.amdhsa_user_sgpr_count 14
		.amdhsa_user_sgpr_dispatch_ptr 0
		.amdhsa_user_sgpr_queue_ptr 0
		.amdhsa_user_sgpr_kernarg_segment_ptr 1
		.amdhsa_user_sgpr_dispatch_id 0
		.amdhsa_user_sgpr_private_segment_size 0
		.amdhsa_wavefront_size32 1
		.amdhsa_uses_dynamic_stack 0
		.amdhsa_enable_private_segment 0
		.amdhsa_system_sgpr_workgroup_id_x 1
		.amdhsa_system_sgpr_workgroup_id_y 1
		.amdhsa_system_sgpr_workgroup_id_z 0
		.amdhsa_system_sgpr_workgroup_info 0
		.amdhsa_system_vgpr_workitem_id 0
		.amdhsa_next_free_vgpr 64
		.amdhsa_next_free_sgpr 84
		.amdhsa_reserve_vcc 1
		.amdhsa_float_round_mode_32 0
		.amdhsa_float_round_mode_16_64 0
		.amdhsa_float_denorm_mode_32 3
		.amdhsa_float_denorm_mode_16_64 3
		.amdhsa_dx10_clamp 1
		.amdhsa_ieee_mode 1
		.amdhsa_fp16_overflow 0
		.amdhsa_workgroup_processor_mode 1
		.amdhsa_memory_ordered 1
		.amdhsa_forward_progress 0
		.amdhsa_shared_vgpr_count 0
		.amdhsa_exception_fp_ieee_invalid_op 0
		.amdhsa_exception_fp_denorm_src 0
		.amdhsa_exception_fp_ieee_div_zero 0
		.amdhsa_exception_fp_ieee_overflow 0
		.amdhsa_exception_fp_ieee_underflow 0
		.amdhsa_exception_fp_ieee_inexact 0
		.amdhsa_exception_int_div_zero 0
	.end_amdhsa_kernel
	.section	.text._ZN9rocsolver6v33100L12steqr_kernelIffPfEEviPT0_lS4_lT1_iilPiS4_iS3_S3_S3_,"axG",@progbits,_ZN9rocsolver6v33100L12steqr_kernelIffPfEEviPT0_lS4_lT1_iilPiS4_iS3_S3_S3_,comdat
.Lfunc_end6:
	.size	_ZN9rocsolver6v33100L12steqr_kernelIffPfEEviPT0_lS4_lT1_iilPiS4_iS3_S3_S3_, .Lfunc_end6-_ZN9rocsolver6v33100L12steqr_kernelIffPfEEviPT0_lS4_lT1_iilPiS4_iS3_S3_S3_
                                        ; -- End function
	.section	.AMDGPU.csdata,"",@progbits
; Kernel info:
; codeLenInByte = 15620
; NumSgprs: 86
; NumVgprs: 64
; ScratchSize: 0
; MemoryBound: 0
; FloatMode: 240
; IeeeMode: 1
; LDSByteSize: 36 bytes/workgroup (compile time only)
; SGPRBlocks: 10
; VGPRBlocks: 7
; NumSGPRsForWavesPerEU: 86
; NumVGPRsForWavesPerEU: 64
; Occupancy: 16
; WaveLimiterHint : 0
; COMPUTE_PGM_RSRC2:SCRATCH_EN: 0
; COMPUTE_PGM_RSRC2:USER_SGPR: 14
; COMPUTE_PGM_RSRC2:TRAP_HANDLER: 0
; COMPUTE_PGM_RSRC2:TGID_X_EN: 1
; COMPUTE_PGM_RSRC2:TGID_Y_EN: 1
; COMPUTE_PGM_RSRC2:TGID_Z_EN: 0
; COMPUTE_PGM_RSRC2:TIDIG_COMP_CNT: 0
	.section	.text._ZN9rocsolver6v33100L16reset_batch_infoIdiiPdEEvT2_lT0_T1_,"axG",@progbits,_ZN9rocsolver6v33100L16reset_batch_infoIdiiPdEEvT2_lT0_T1_,comdat
	.globl	_ZN9rocsolver6v33100L16reset_batch_infoIdiiPdEEvT2_lT0_T1_ ; -- Begin function _ZN9rocsolver6v33100L16reset_batch_infoIdiiPdEEvT2_lT0_T1_
	.p2align	8
	.type	_ZN9rocsolver6v33100L16reset_batch_infoIdiiPdEEvT2_lT0_T1_,@function
_ZN9rocsolver6v33100L16reset_batch_infoIdiiPdEEvT2_lT0_T1_: ; @_ZN9rocsolver6v33100L16reset_batch_infoIdiiPdEEvT2_lT0_T1_
; %bb.0:
	s_clause 0x1
	s_load_b32 s4, s[0:1], 0x24
	s_load_b64 s[2:3], s[0:1], 0x10
	s_waitcnt lgkmcnt(0)
	s_and_b32 s4, s4, 0xffff
	s_delay_alu instid0(SALU_CYCLE_1) | instskip(NEXT) | instid1(VALU_DEP_1)
	v_mad_u64_u32 v[1:2], null, s14, s4, v[0:1]
	v_cmp_gt_i32_e32 vcc_lo, s2, v1
	s_and_saveexec_b32 s2, vcc_lo
	s_cbranch_execz .LBB7_2
; %bb.1:
	v_cvt_f64_i32_e32 v[3:4], s3
	s_load_b128 s[4:7], s[0:1], 0x0
	v_ashrrev_i32_e32 v2, 31, v1
	s_ashr_i32 s0, s15, 31
	s_delay_alu instid0(VALU_DEP_1)
	v_lshlrev_b64 v[0:1], 3, v[1:2]
	s_waitcnt lgkmcnt(0)
	s_mul_i32 s1, s15, s7
	s_mul_hi_u32 s2, s15, s6
	s_mul_i32 s0, s0, s6
	s_add_i32 s1, s2, s1
	s_delay_alu instid0(SALU_CYCLE_1) | instskip(SKIP_1) | instid1(SALU_CYCLE_1)
	s_add_i32 s1, s1, s0
	s_mul_i32 s0, s15, s6
	s_lshl_b64 s[0:1], s[0:1], 3
	s_delay_alu instid0(SALU_CYCLE_1)
	s_add_u32 s0, s4, s0
	s_addc_u32 s1, s5, s1
	v_add_co_u32 v0, vcc_lo, s0, v0
	v_add_co_ci_u32_e32 v1, vcc_lo, s1, v1, vcc_lo
	global_store_b64 v[0:1], v[3:4], off
.LBB7_2:
	s_nop 0
	s_sendmsg sendmsg(MSG_DEALLOC_VGPRS)
	s_endpgm
	.section	.rodata,"a",@progbits
	.p2align	6, 0x0
	.amdhsa_kernel _ZN9rocsolver6v33100L16reset_batch_infoIdiiPdEEvT2_lT0_T1_
		.amdhsa_group_segment_fixed_size 0
		.amdhsa_private_segment_fixed_size 0
		.amdhsa_kernarg_size 280
		.amdhsa_user_sgpr_count 14
		.amdhsa_user_sgpr_dispatch_ptr 0
		.amdhsa_user_sgpr_queue_ptr 0
		.amdhsa_user_sgpr_kernarg_segment_ptr 1
		.amdhsa_user_sgpr_dispatch_id 0
		.amdhsa_user_sgpr_private_segment_size 0
		.amdhsa_wavefront_size32 1
		.amdhsa_uses_dynamic_stack 0
		.amdhsa_enable_private_segment 0
		.amdhsa_system_sgpr_workgroup_id_x 1
		.amdhsa_system_sgpr_workgroup_id_y 1
		.amdhsa_system_sgpr_workgroup_id_z 0
		.amdhsa_system_sgpr_workgroup_info 0
		.amdhsa_system_vgpr_workitem_id 0
		.amdhsa_next_free_vgpr 5
		.amdhsa_next_free_sgpr 16
		.amdhsa_reserve_vcc 1
		.amdhsa_float_round_mode_32 0
		.amdhsa_float_round_mode_16_64 0
		.amdhsa_float_denorm_mode_32 3
		.amdhsa_float_denorm_mode_16_64 3
		.amdhsa_dx10_clamp 1
		.amdhsa_ieee_mode 1
		.amdhsa_fp16_overflow 0
		.amdhsa_workgroup_processor_mode 1
		.amdhsa_memory_ordered 1
		.amdhsa_forward_progress 0
		.amdhsa_shared_vgpr_count 0
		.amdhsa_exception_fp_ieee_invalid_op 0
		.amdhsa_exception_fp_denorm_src 0
		.amdhsa_exception_fp_ieee_div_zero 0
		.amdhsa_exception_fp_ieee_overflow 0
		.amdhsa_exception_fp_ieee_underflow 0
		.amdhsa_exception_fp_ieee_inexact 0
		.amdhsa_exception_int_div_zero 0
	.end_amdhsa_kernel
	.section	.text._ZN9rocsolver6v33100L16reset_batch_infoIdiiPdEEvT2_lT0_T1_,"axG",@progbits,_ZN9rocsolver6v33100L16reset_batch_infoIdiiPdEEvT2_lT0_T1_,comdat
.Lfunc_end7:
	.size	_ZN9rocsolver6v33100L16reset_batch_infoIdiiPdEEvT2_lT0_T1_, .Lfunc_end7-_ZN9rocsolver6v33100L16reset_batch_infoIdiiPdEEvT2_lT0_T1_
                                        ; -- End function
	.section	.AMDGPU.csdata,"",@progbits
; Kernel info:
; codeLenInByte = 168
; NumSgprs: 18
; NumVgprs: 5
; ScratchSize: 0
; MemoryBound: 0
; FloatMode: 240
; IeeeMode: 1
; LDSByteSize: 0 bytes/workgroup (compile time only)
; SGPRBlocks: 2
; VGPRBlocks: 0
; NumSGPRsForWavesPerEU: 18
; NumVGPRsForWavesPerEU: 5
; Occupancy: 16
; WaveLimiterHint : 0
; COMPUTE_PGM_RSRC2:SCRATCH_EN: 0
; COMPUTE_PGM_RSRC2:USER_SGPR: 14
; COMPUTE_PGM_RSRC2:TRAP_HANDLER: 0
; COMPUTE_PGM_RSRC2:TGID_X_EN: 1
; COMPUTE_PGM_RSRC2:TGID_Y_EN: 1
; COMPUTE_PGM_RSRC2:TGID_Z_EN: 0
; COMPUTE_PGM_RSRC2:TIDIG_COMP_CNT: 0
	.section	.text._ZN9rocsolver6v33100L10init_identIdPdEEviiT0_iil,"axG",@progbits,_ZN9rocsolver6v33100L10init_identIdPdEEviiT0_iil,comdat
	.globl	_ZN9rocsolver6v33100L10init_identIdPdEEviiT0_iil ; -- Begin function _ZN9rocsolver6v33100L10init_identIdPdEEviiT0_iil
	.p2align	8
	.type	_ZN9rocsolver6v33100L10init_identIdPdEEviiT0_iil,@function
_ZN9rocsolver6v33100L10init_identIdPdEEviiT0_iil: ; @_ZN9rocsolver6v33100L10init_identIdPdEEviiT0_iil
; %bb.0:
	s_clause 0x1
	s_load_b32 s4, s[0:1], 0x2c
	s_load_b64 s[2:3], s[0:1], 0x0
	v_and_b32_e32 v1, 0x3ff, v0
	v_bfe_u32 v0, v0, 10, 10
	s_waitcnt lgkmcnt(0)
	s_lshr_b32 s5, s4, 16
	s_and_b32 s4, s4, 0xffff
	s_delay_alu instid0(SALU_CYCLE_1) | instskip(SKIP_1) | instid1(VALU_DEP_2)
	v_mad_u64_u32 v[4:5], null, s13, s4, v[1:2]
	v_mad_u64_u32 v[2:3], null, s14, s5, v[0:1]
	v_cmp_gt_u32_e32 vcc_lo, s2, v4
	s_delay_alu instid0(VALU_DEP_2) | instskip(NEXT) | instid1(VALU_DEP_1)
	v_cmp_gt_u32_e64 s2, s3, v2
	s_and_b32 s2, vcc_lo, s2
	s_delay_alu instid0(SALU_CYCLE_1)
	s_and_saveexec_b32 s3, s2
	s_cbranch_execz .LBB8_6
; %bb.1:
	s_load_b64 s[2:3], s[0:1], 0x10
	s_mov_b32 s6, exec_lo
                                        ; implicit-def: $sgpr4_sgpr5
                                        ; implicit-def: $vgpr0
	v_cmpx_ne_u32_e64 v4, v2
	s_xor_b32 s6, exec_lo, s6
	s_cbranch_execz .LBB8_3
; %bb.2:
	s_waitcnt lgkmcnt(0)
	v_mad_u64_u32 v[0:1], null, v2, s3, v[4:5]
	s_mov_b64 s[4:5], 0
                                        ; implicit-def: $vgpr4_vgpr5
.LBB8_3:
	s_or_saveexec_b32 s6, s6
	v_dual_mov_b32 v2, s4 :: v_dual_mov_b32 v3, s5
	s_xor_b32 exec_lo, exec_lo, s6
	s_cbranch_execz .LBB8_5
; %bb.4:
	s_waitcnt lgkmcnt(0)
	v_mad_u64_u32 v[0:1], null, v4, s3, v[4:5]
	v_mov_b32_e32 v2, 0
	v_mov_b32_e32 v3, 0x3ff00000
.LBB8_5:
	s_or_b32 exec_lo, exec_lo, s6
	s_clause 0x1
	s_load_b64 s[4:5], s[0:1], 0x18
	s_load_b64 s[0:1], s[0:1], 0x8
	v_mov_b32_e32 v1, 0
	s_delay_alu instid0(VALU_DEP_1)
	v_lshlrev_b64 v[0:1], 3, v[0:1]
	s_waitcnt lgkmcnt(0)
	s_mul_i32 s3, s15, s5
	s_mul_hi_u32 s5, s15, s4
	s_mul_i32 s4, s15, s4
	s_add_i32 s5, s5, s3
	s_ashr_i32 s3, s2, 31
	s_lshl_b64 s[4:5], s[4:5], 3
	s_delay_alu instid0(SALU_CYCLE_1) | instskip(SKIP_2) | instid1(SALU_CYCLE_1)
	s_add_u32 s4, s0, s4
	s_addc_u32 s5, s1, s5
	s_lshl_b64 s[0:1], s[2:3], 3
	s_add_u32 s0, s4, s0
	s_addc_u32 s1, s5, s1
	v_add_co_u32 v0, vcc_lo, s0, v0
	v_add_co_ci_u32_e32 v1, vcc_lo, s1, v1, vcc_lo
	global_store_b64 v[0:1], v[2:3], off
.LBB8_6:
	s_nop 0
	s_sendmsg sendmsg(MSG_DEALLOC_VGPRS)
	s_endpgm
	.section	.rodata,"a",@progbits
	.p2align	6, 0x0
	.amdhsa_kernel _ZN9rocsolver6v33100L10init_identIdPdEEviiT0_iil
		.amdhsa_group_segment_fixed_size 0
		.amdhsa_private_segment_fixed_size 0
		.amdhsa_kernarg_size 288
		.amdhsa_user_sgpr_count 13
		.amdhsa_user_sgpr_dispatch_ptr 0
		.amdhsa_user_sgpr_queue_ptr 0
		.amdhsa_user_sgpr_kernarg_segment_ptr 1
		.amdhsa_user_sgpr_dispatch_id 0
		.amdhsa_user_sgpr_private_segment_size 0
		.amdhsa_wavefront_size32 1
		.amdhsa_uses_dynamic_stack 0
		.amdhsa_enable_private_segment 0
		.amdhsa_system_sgpr_workgroup_id_x 1
		.amdhsa_system_sgpr_workgroup_id_y 1
		.amdhsa_system_sgpr_workgroup_id_z 1
		.amdhsa_system_sgpr_workgroup_info 0
		.amdhsa_system_vgpr_workitem_id 1
		.amdhsa_next_free_vgpr 6
		.amdhsa_next_free_sgpr 16
		.amdhsa_reserve_vcc 1
		.amdhsa_float_round_mode_32 0
		.amdhsa_float_round_mode_16_64 0
		.amdhsa_float_denorm_mode_32 3
		.amdhsa_float_denorm_mode_16_64 3
		.amdhsa_dx10_clamp 1
		.amdhsa_ieee_mode 1
		.amdhsa_fp16_overflow 0
		.amdhsa_workgroup_processor_mode 1
		.amdhsa_memory_ordered 1
		.amdhsa_forward_progress 0
		.amdhsa_shared_vgpr_count 0
		.amdhsa_exception_fp_ieee_invalid_op 0
		.amdhsa_exception_fp_denorm_src 0
		.amdhsa_exception_fp_ieee_div_zero 0
		.amdhsa_exception_fp_ieee_overflow 0
		.amdhsa_exception_fp_ieee_underflow 0
		.amdhsa_exception_fp_ieee_inexact 0
		.amdhsa_exception_int_div_zero 0
	.end_amdhsa_kernel
	.section	.text._ZN9rocsolver6v33100L10init_identIdPdEEviiT0_iil,"axG",@progbits,_ZN9rocsolver6v33100L10init_identIdPdEEviiT0_iil,comdat
.Lfunc_end8:
	.size	_ZN9rocsolver6v33100L10init_identIdPdEEviiT0_iil, .Lfunc_end8-_ZN9rocsolver6v33100L10init_identIdPdEEviiT0_iil
                                        ; -- End function
	.section	.AMDGPU.csdata,"",@progbits
; Kernel info:
; codeLenInByte = 316
; NumSgprs: 18
; NumVgprs: 6
; ScratchSize: 0
; MemoryBound: 0
; FloatMode: 240
; IeeeMode: 1
; LDSByteSize: 0 bytes/workgroup (compile time only)
; SGPRBlocks: 2
; VGPRBlocks: 0
; NumSGPRsForWavesPerEU: 18
; NumVGPRsForWavesPerEU: 6
; Occupancy: 16
; WaveLimiterHint : 0
; COMPUTE_PGM_RSRC2:SCRATCH_EN: 0
; COMPUTE_PGM_RSRC2:USER_SGPR: 13
; COMPUTE_PGM_RSRC2:TRAP_HANDLER: 0
; COMPUTE_PGM_RSRC2:TGID_X_EN: 1
; COMPUTE_PGM_RSRC2:TGID_Y_EN: 1
; COMPUTE_PGM_RSRC2:TGID_Z_EN: 1
; COMPUTE_PGM_RSRC2:TIDIG_COMP_CNT: 1
	.section	.text._ZN9rocsolver6v33100L12sterf_kernelIdEEviPT_lS3_lPiS4_iS2_S2_S2_,"axG",@progbits,_ZN9rocsolver6v33100L12sterf_kernelIdEEviPT_lS3_lPiS4_iS2_S2_S2_,comdat
	.globl	_ZN9rocsolver6v33100L12sterf_kernelIdEEviPT_lS3_lPiS4_iS2_S2_S2_ ; -- Begin function _ZN9rocsolver6v33100L12sterf_kernelIdEEviPT_lS3_lPiS4_iS2_S2_S2_
	.p2align	8
	.type	_ZN9rocsolver6v33100L12sterf_kernelIdEEviPT_lS3_lPiS4_iS2_S2_S2_,@function
_ZN9rocsolver6v33100L12sterf_kernelIdEEviPT_lS3_lPiS4_iS2_S2_S2_: ; @_ZN9rocsolver6v33100L12sterf_kernelIdEEviPT_lS3_lPiS4_iS2_S2_S2_
; %bb.0:
	s_mov_b32 s20, s15
	s_clause 0x2
	s_load_b256 s[8:15], s[0:1], 0x8
	s_load_b32 s33, s[0:1], 0x0
	s_load_b32 s50, s[0:1], 0x38
	s_ashr_i32 s21, s20, 31
	s_waitcnt lgkmcnt(0)
	s_mul_i32 s3, s20, s11
	s_mul_hi_u32 s4, s20, s10
	s_mul_i32 s5, s21, s10
	s_add_i32 s3, s4, s3
	s_mul_i32 s2, s20, s10
	s_add_i32 s3, s3, s5
	s_mul_i32 s4, s20, s15
	s_lshl_b64 s[6:7], s[2:3], 3
	s_mul_hi_u32 s5, s20, s14
	s_add_u32 s48, s8, s6
	s_mul_i32 s3, s21, s14
	s_addc_u32 s49, s9, s7
	s_add_i32 s4, s5, s4
	s_mul_i32 s2, s20, s14
	s_add_i32 s3, s4, s3
	s_delay_alu instid0(SALU_CYCLE_1) | instskip(NEXT) | instid1(SALU_CYCLE_1)
	s_lshl_b64 s[2:3], s[2:3], 3
	s_add_u32 s10, s12, s2
	s_addc_u32 s11, s13, s3
	s_min_i32 s4, s33, s50
	s_delay_alu instid0(SALU_CYCLE_1)
	s_cmp_lt_i32 s4, 1
	s_cbranch_scc1 .LBB9_152
; %bb.1:
	s_clause 0x1
	s_load_b128 s[16:19], s[0:1], 0x40
	s_load_b64 s[14:15], s[0:1], 0x50
	s_add_i32 s51, s33, -1
	s_add_u32 s52, s10, -8
	s_addc_u32 s53, s11, -1
	s_add_u32 s54, s48, -8
	s_addc_u32 s55, s49, -1
	s_add_u32 s56, s12, s2
	s_addc_u32 s57, s13, s3
	s_add_u32 s58, s56, -8
	s_addc_u32 s59, s57, -1
	s_add_u32 s60, s8, s6
	s_addc_u32 s61, s9, s7
	s_add_u32 s62, s60, 8
	v_mov_b32_e32 v2, 0
	s_addc_u32 s63, s61, 0
	s_add_u32 s64, s56, 8
	s_mov_b32 s12, 0x667f3bcd
	s_addc_u32 s65, s57, 0
	s_mov_b32 s13, 0x3ff6a09e
	s_waitcnt lgkmcnt(0)
	v_mul_f64 v[0:1], s[16:17], s[16:17]
	s_mov_b32 s23, 0
	s_mov_b32 s66, 0
	;; [unrolled: 1-line block ×3, first 2 shown]
	s_branch .LBB9_4
.LBB9_2:                                ;   in Loop: Header=BB9_4 Depth=1
	s_cmp_ge_i32 s37, s50
	s_cselect_b32 s2, -1, 0
	s_cmp_ge_i32 s66, s33
	s_cselect_b32 s3, -1, 0
	s_delay_alu instid0(SALU_CYCLE_1)
	s_or_b32 s2, s3, s2
.LBB9_3:                                ;   in Loop: Header=BB9_4 Depth=1
	s_delay_alu instid0(SALU_CYCLE_1)
	s_and_b32 vcc_lo, exec_lo, s2
	s_mov_b32 s67, s37
	s_cbranch_vccnz .LBB9_152
.LBB9_4:                                ; =>This Loop Header: Depth=1
                                        ;     Child Loop BB9_6 Depth 2
                                        ;       Child Loop BB9_12 Depth 3
                                        ;       Child Loop BB9_19 Depth 3
                                        ;     Child Loop BB9_36 Depth 2
                                        ;     Child Loop BB9_30 Depth 2
	;; [unrolled: 1-line block ×4, first 2 shown]
                                        ;       Child Loop BB9_51 Depth 3
                                        ;       Child Loop BB9_63 Depth 3
                                        ;     Child Loop BB9_97 Depth 2
                                        ;       Child Loop BB9_99 Depth 3
                                        ;       Child Loop BB9_112 Depth 3
                                        ;     Child Loop BB9_147 Depth 2
                                        ;     Child Loop BB9_151 Depth 2
	s_mov_b32 s28, s66
	s_branch .LBB9_6
.LBB9_5:                                ;   in Loop: Header=BB9_6 Depth=2
	s_and_not1_b32 vcc_lo, exec_lo, s29
	s_mov_b32 s28, s66
	s_cbranch_vccz .LBB9_25
.LBB9_6:                                ;   Parent Loop BB9_4 Depth=1
                                        ; =>  This Loop Header: Depth=2
                                        ;       Child Loop BB9_12 Depth 3
                                        ;       Child Loop BB9_19 Depth 3
	s_cmp_gt_i32 s28, 0
	s_mov_b32 s29, -1
                                        ; implicit-def: $sgpr4_sgpr5
	s_cbranch_scc1 .LBB9_8
; %bb.7:                                ;   in Loop: Header=BB9_6 Depth=2
	s_mov_b32 s29, 0
	s_delay_alu instid0(SALU_CYCLE_1)
	s_mov_b64 s[4:5], s[28:29]
.LBB9_8:                                ;   in Loop: Header=BB9_6 Depth=2
	s_and_not1_b32 vcc_lo, exec_lo, s29
	s_cbranch_vccnz .LBB9_10
; %bb.9:                                ;   in Loop: Header=BB9_6 Depth=2
	s_mov_b32 s29, s23
	v_mov_b32_e32 v3, v2
	s_lshl_b64 s[2:3], s[28:29], 3
	s_mov_b64 s[4:5], s[28:29]
	s_add_u32 s2, s52, s2
	s_addc_u32 s3, s53, s3
	global_store_b64 v2, v[2:3], s[2:3]
.LBB9_10:                               ;   in Loop: Header=BB9_6 Depth=2
	s_lshl_b64 s[24:25], s[4:5], 3
	s_mov_b32 s66, s28
	s_add_u32 s2, s58, s24
	s_addc_u32 s3, s59, s25
	s_add_u32 s26, s62, s24
	s_addc_u32 s27, s63, s25
	s_branch .LBB9_12
.LBB9_11:                               ;   in Loop: Header=BB9_12 Depth=3
	s_delay_alu instid0(VALU_DEP_1)
	s_and_not1_b32 vcc_lo, exec_lo, s34
	s_cbranch_vccz .LBB9_14
.LBB9_12:                               ;   Parent Loop BB9_4 Depth=1
                                        ;     Parent Loop BB9_6 Depth=2
                                        ; =>    This Inner Loop Header: Depth=3
	s_mov_b32 s22, s66
	s_mov_b32 s29, -1
	s_cmp_ge_i32 s66, s51
	s_mov_b32 s34, -1
                                        ; implicit-def: $sgpr66
                                        ; implicit-def: $sgpr30_sgpr31
	s_cbranch_scc1 .LBB9_11
; %bb.13:                               ;   in Loop: Header=BB9_12 Depth=3
	s_clause 0x1
	global_load_b128 v[3:6], v2, s[26:27] offset:-8
	global_load_b64 v[19:20], v2, s[2:3] offset:8
	s_add_u32 s30, s2, 8
	s_addc_u32 s31, s3, 0
	s_waitcnt vmcnt(1)
	v_cmp_gt_f64_e64 s29, 0x10000000, |v[3:4]|
	v_cmp_gt_f64_e64 s34, 0x10000000, |v[5:6]|
	s_delay_alu instid0(VALU_DEP_2) | instskip(NEXT) | instid1(VALU_DEP_2)
	v_cndmask_b32_e64 v7, 0, 1, s29
	v_cndmask_b32_e64 v8, 0, 1, s34
	s_and_b32 s2, s29, exec_lo
	s_cselect_b32 s2, 0xffffff80, 0
	s_add_i32 s66, s22, 1
	v_lshlrev_b32_e32 v7, 8, v7
	s_and_b32 s3, s34, exec_lo
	s_cselect_b32 s3, 0xffffff80, 0
	s_add_u32 s26, s26, 8
	s_addc_u32 s27, s27, 0
	v_ldexp_f64 v[3:4], |v[3:4]|, v7
	s_mov_b32 s29, 0
	s_delay_alu instid0(VALU_DEP_1) | instskip(SKIP_1) | instid1(VALU_DEP_1)
	v_cmp_class_f64_e64 vcc_lo, v[3:4], 0x260
	v_lshlrev_b32_e32 v8, 8, v8
	v_ldexp_f64 v[5:6], |v[5:6]|, v8
	v_rsq_f64_e32 v[7:8], v[3:4]
	s_delay_alu instid0(VALU_DEP_1)
	v_rsq_f64_e32 v[9:10], v[5:6]
	s_waitcnt_depctr 0xfff
	v_mul_f64 v[11:12], v[3:4], v[7:8]
	v_mul_f64 v[7:8], v[7:8], 0.5
	v_mul_f64 v[13:14], v[5:6], v[9:10]
	v_mul_f64 v[9:10], v[9:10], 0.5
	s_delay_alu instid0(VALU_DEP_3) | instskip(NEXT) | instid1(VALU_DEP_2)
	v_fma_f64 v[15:16], -v[7:8], v[11:12], 0.5
	v_fma_f64 v[17:18], -v[9:10], v[13:14], 0.5
	s_delay_alu instid0(VALU_DEP_2) | instskip(SKIP_1) | instid1(VALU_DEP_3)
	v_fma_f64 v[11:12], v[11:12], v[15:16], v[11:12]
	v_fma_f64 v[7:8], v[7:8], v[15:16], v[7:8]
	;; [unrolled: 1-line block ×3, first 2 shown]
	s_delay_alu instid0(VALU_DEP_3) | instskip(SKIP_1) | instid1(VALU_DEP_3)
	v_fma_f64 v[15:16], -v[11:12], v[11:12], v[3:4]
	v_fma_f64 v[9:10], v[9:10], v[17:18], v[9:10]
	v_fma_f64 v[17:18], -v[13:14], v[13:14], v[5:6]
	s_delay_alu instid0(VALU_DEP_3) | instskip(NEXT) | instid1(VALU_DEP_2)
	v_fma_f64 v[11:12], v[15:16], v[7:8], v[11:12]
	v_fma_f64 v[13:14], v[17:18], v[9:10], v[13:14]
	s_delay_alu instid0(VALU_DEP_2) | instskip(NEXT) | instid1(VALU_DEP_2)
	v_fma_f64 v[15:16], -v[11:12], v[11:12], v[3:4]
	v_fma_f64 v[17:18], -v[13:14], v[13:14], v[5:6]
	s_delay_alu instid0(VALU_DEP_2) | instskip(NEXT) | instid1(VALU_DEP_2)
	v_fma_f64 v[7:8], v[15:16], v[7:8], v[11:12]
	v_fma_f64 v[9:10], v[17:18], v[9:10], v[13:14]
	s_delay_alu instid0(VALU_DEP_2) | instskip(SKIP_1) | instid1(VALU_DEP_3)
	v_ldexp_f64 v[7:8], v[7:8], s2
	v_cmp_class_f64_e64 s2, v[5:6], 0x260
	v_ldexp_f64 v[9:10], v[9:10], s3
	s_delay_alu instid0(VALU_DEP_3) | instskip(NEXT) | instid1(VALU_DEP_2)
	v_dual_cndmask_b32 v3, v7, v3 :: v_dual_cndmask_b32 v4, v8, v4
	v_cndmask_b32_e64 v6, v10, v6, s2
	s_delay_alu instid0(VALU_DEP_3) | instskip(SKIP_1) | instid1(VALU_DEP_1)
	v_cndmask_b32_e64 v5, v9, v5, s2
	s_mov_b64 s[2:3], s[30:31]
	v_mul_f64 v[3:4], v[3:4], v[5:6]
	s_delay_alu instid0(VALU_DEP_1) | instskip(SKIP_1) | instid1(VALU_DEP_1)
	v_mul_f64 v[3:4], v[3:4], s[16:17]
	s_waitcnt vmcnt(0)
	v_cmp_le_f64_e64 s34, |v[19:20]|, v[3:4]
	s_branch .LBB9_11
.LBB9_14:                               ;   in Loop: Header=BB9_6 Depth=2
	s_and_not1_b32 vcc_lo, exec_lo, s29
	s_mov_b32 s2, -1
	s_cbranch_vccnz .LBB9_21
; %bb.15:                               ;   in Loop: Header=BB9_6 Depth=2
	s_and_not1_b32 vcc_lo, exec_lo, s2
	s_cbranch_vccz .LBB9_22
.LBB9_16:                               ;   in Loop: Header=BB9_6 Depth=2
	s_cmp_lg_u32 s22, s28
	s_mov_b32 s29, -1
	s_cbranch_scc0 .LBB9_23
.LBB9_17:                               ;   in Loop: Header=BB9_6 Depth=2
	s_lshl_b64 s[2:3], s[22:23], 3
	s_delay_alu instid0(SALU_CYCLE_1)
	s_add_u32 s26, s48, s2
	s_addc_u32 s27, s49, s3
	s_cmp_lt_i32 s28, s22
	global_load_b64 v[6:7], v2, s[26:27]
	s_cselect_b32 s34, -1, 0
	s_cmp_ge_i32 s28, s22
	s_waitcnt vmcnt(0)
	v_dual_mov_b32 v4, v6 :: v_dual_and_b32 v5, 0x7fffffff, v7
	s_cbranch_scc1 .LBB9_20
; %bb.18:                               ;   in Loop: Header=BB9_6 Depth=2
	s_add_u32 s2, s60, s24
	s_addc_u32 s3, s61, s25
	s_add_u32 s30, s56, s24
	s_addc_u32 s31, s57, s25
	s_mov_b32 s35, s28
	.p2align	6
.LBB9_19:                               ;   Parent Loop BB9_4 Depth=1
                                        ;     Parent Loop BB9_6 Depth=2
                                        ; =>    This Inner Loop Header: Depth=3
	s_clause 0x1
	global_load_b64 v[8:9], v2, s[30:31]
	global_load_b64 v[10:11], v2, s[2:3]
	v_max_f64 v[3:4], v[4:5], v[4:5]
	s_add_i32 s35, s35, 1
	s_add_u32 s2, s2, 8
	s_addc_u32 s3, s3, 0
	s_add_u32 s30, s30, 8
	s_addc_u32 s31, s31, 0
	s_cmp_lt_i32 s35, s22
	s_waitcnt vmcnt(1)
	v_max_f64 v[8:9], |v[8:9]|, |v[8:9]|
	s_waitcnt vmcnt(0)
	v_max_f64 v[10:11], |v[10:11]|, |v[10:11]|
	s_delay_alu instid0(VALU_DEP_1) | instskip(NEXT) | instid1(VALU_DEP_1)
	v_max_f64 v[8:9], v[10:11], v[8:9]
	v_max_f64 v[4:5], v[3:4], v[8:9]
	s_cbranch_scc1 .LBB9_19
.LBB9_20:                               ;   in Loop: Header=BB9_6 Depth=2
	s_delay_alu instid0(VALU_DEP_1) | instskip(SKIP_1) | instid1(VALU_DEP_1)
	v_cmp_eq_f64_e64 s3, 0, v[4:5]
	s_mov_b32 s2, -1
	s_and_b32 vcc_lo, exec_lo, s3
	s_mov_b32 s68, s28
	s_cbranch_vccz .LBB9_5
	s_branch .LBB9_24
.LBB9_21:                               ;   in Loop: Header=BB9_6 Depth=2
	v_mov_b32_e32 v3, v2
	global_store_b64 v2, v[2:3], s[30:31]
	s_cbranch_execnz .LBB9_16
.LBB9_22:                               ;   in Loop: Header=BB9_6 Depth=2
	s_max_i32 s22, s28, s51
	s_delay_alu instid0(SALU_CYCLE_1)
	s_add_i32 s66, s22, 1
	s_cmp_lg_u32 s22, s28
	s_mov_b32 s29, -1
	s_cbranch_scc1 .LBB9_17
.LBB9_23:                               ;   in Loop: Header=BB9_6 Depth=2
                                        ; implicit-def: $sgpr2
                                        ; implicit-def: $sgpr26_sgpr27
                                        ; implicit-def: $vgpr6_vgpr7
                                        ; implicit-def: $sgpr34
                                        ; implicit-def: $vgpr4_vgpr5
	s_mov_b32 s68, s28
	s_cbranch_execz .LBB9_5
.LBB9_24:                               ;   in Loop: Header=BB9_6 Depth=2
	s_cmp_ge_i32 s66, s33
	s_mov_b32 s2, 0
	s_cselect_b32 s29, -1, 0
	s_mov_b32 s68, s28
	s_branch .LBB9_5
.LBB9_25:                               ;   in Loop: Header=BB9_4 Depth=1
	s_and_b32 vcc_lo, exec_lo, s2
	s_mov_b32 s2, -1
                                        ; implicit-def: $sgpr37
	s_cbranch_vccz .LBB9_3
; %bb.26:                               ;   in Loop: Header=BB9_4 Depth=1
	v_cmp_nlt_f64_e32 vcc_lo, s[14:15], v[4:5]
	s_cbranch_vccz .LBB9_32
; %bb.27:                               ;   in Loop: Header=BB9_4 Depth=1
	v_cmp_gt_f64_e32 vcc_lo, s[18:19], v[4:5]
	s_cbranch_vccz .LBB9_33
; %bb.28:                               ;   in Loop: Header=BB9_4 Depth=1
	v_div_scale_f64 v[8:9], null, s[18:19], s[18:19], v[4:5]
	v_div_scale_f64 v[14:15], vcc_lo, v[4:5], s[18:19], v[4:5]
	s_mov_b32 s2, 0
	s_delay_alu instid0(VALU_DEP_2) | instskip(SKIP_2) | instid1(VALU_DEP_1)
	v_rcp_f64_e32 v[10:11], v[8:9]
	s_waitcnt_depctr 0xfff
	v_fma_f64 v[12:13], -v[8:9], v[10:11], 1.0
	v_fma_f64 v[10:11], v[10:11], v[12:13], v[10:11]
	s_delay_alu instid0(VALU_DEP_1) | instskip(NEXT) | instid1(VALU_DEP_1)
	v_fma_f64 v[12:13], -v[8:9], v[10:11], 1.0
	v_fma_f64 v[10:11], v[10:11], v[12:13], v[10:11]
	s_delay_alu instid0(VALU_DEP_1) | instskip(NEXT) | instid1(VALU_DEP_1)
	v_mul_f64 v[12:13], v[14:15], v[10:11]
	v_fma_f64 v[8:9], -v[8:9], v[12:13], v[14:15]
	s_delay_alu instid0(VALU_DEP_1) | instskip(SKIP_1) | instid1(VALU_DEP_1)
	v_div_fmas_f64 v[8:9], v[8:9], v[10:11], v[12:13]
	s_and_b32 vcc_lo, exec_lo, s34
	v_div_fixup_f64 v[8:9], v[8:9], s[18:19], v[4:5]
	s_waitcnt vmcnt(0)
	s_delay_alu instid0(VALU_DEP_1)
	v_mul_f64 v[10:11], v[6:7], v[8:9]
	global_store_b64 v2, v[10:11], s[26:27]
	s_cbranch_vccz .LBB9_33
; %bb.29:                               ;   in Loop: Header=BB9_4 Depth=1
	s_add_u32 s2, s60, s24
	s_addc_u32 s3, s61, s25
	s_add_u32 s28, s56, s24
	s_addc_u32 s29, s57, s25
	s_mov_b32 s30, s68
	.p2align	6
.LBB9_30:                               ;   Parent Loop BB9_4 Depth=1
                                        ; =>  This Inner Loop Header: Depth=2
	global_load_b64 v[10:11], v2, s[2:3]
	s_add_i32 s30, s30, 1
	s_waitcnt vmcnt(0)
	v_mul_f64 v[10:11], v[8:9], v[10:11]
	global_store_b64 v2, v[10:11], s[2:3]
	global_load_b64 v[10:11], v2, s[28:29]
	s_add_u32 s2, s2, 8
	s_addc_u32 s3, s3, 0
	s_waitcnt vmcnt(0)
	v_mul_f64 v[10:11], v[8:9], v[10:11]
	global_store_b64 v2, v[10:11], s[28:29]
	s_add_u32 s28, s28, 8
	s_addc_u32 s29, s29, 0
	s_cmp_lt_i32 s30, s22
	s_cbranch_scc1 .LBB9_30
; %bb.31:                               ;   in Loop: Header=BB9_4 Depth=1
	s_mov_b32 s2, -1
	s_branch .LBB9_38
.LBB9_32:                               ;   in Loop: Header=BB9_4 Depth=1
	s_mov_b32 s2, 0
	s_cbranch_execnz .LBB9_34
	s_branch .LBB9_38
.LBB9_33:                               ;   in Loop: Header=BB9_4 Depth=1
	s_branch .LBB9_38
.LBB9_34:                               ;   in Loop: Header=BB9_4 Depth=1
	v_div_scale_f64 v[8:9], null, s[14:15], s[14:15], v[4:5]
	v_div_scale_f64 v[14:15], vcc_lo, v[4:5], s[14:15], v[4:5]
	s_delay_alu instid0(VALU_DEP_2) | instskip(SKIP_2) | instid1(VALU_DEP_1)
	v_rcp_f64_e32 v[10:11], v[8:9]
	s_waitcnt_depctr 0xfff
	v_fma_f64 v[12:13], -v[8:9], v[10:11], 1.0
	v_fma_f64 v[10:11], v[10:11], v[12:13], v[10:11]
	s_delay_alu instid0(VALU_DEP_1) | instskip(NEXT) | instid1(VALU_DEP_1)
	v_fma_f64 v[12:13], -v[8:9], v[10:11], 1.0
	v_fma_f64 v[10:11], v[10:11], v[12:13], v[10:11]
	s_delay_alu instid0(VALU_DEP_1) | instskip(NEXT) | instid1(VALU_DEP_1)
	v_mul_f64 v[12:13], v[14:15], v[10:11]
	v_fma_f64 v[8:9], -v[8:9], v[12:13], v[14:15]
	s_delay_alu instid0(VALU_DEP_1) | instskip(SKIP_1) | instid1(VALU_DEP_1)
	v_div_fmas_f64 v[8:9], v[8:9], v[10:11], v[12:13]
	s_and_b32 vcc_lo, exec_lo, s34
	v_div_fixup_f64 v[8:9], v[8:9], s[14:15], v[4:5]
	s_waitcnt vmcnt(0)
	s_delay_alu instid0(VALU_DEP_1)
	v_mul_f64 v[6:7], v[6:7], v[8:9]
	global_store_b64 v2, v[6:7], s[26:27]
	s_cbranch_vccz .LBB9_38
; %bb.35:                               ;   in Loop: Header=BB9_4 Depth=1
	s_add_u32 s2, s60, s24
	s_addc_u32 s3, s61, s25
	s_add_u32 s28, s56, s24
	s_addc_u32 s29, s57, s25
	s_mov_b32 s30, s68
	.p2align	6
.LBB9_36:                               ;   Parent Loop BB9_4 Depth=1
                                        ; =>  This Inner Loop Header: Depth=2
	global_load_b64 v[6:7], v2, s[2:3]
	s_add_i32 s30, s30, 1
	s_waitcnt vmcnt(0)
	v_mul_f64 v[6:7], v[8:9], v[6:7]
	global_store_b64 v2, v[6:7], s[2:3]
	global_load_b64 v[6:7], v2, s[28:29]
	s_add_u32 s2, s2, 8
	s_addc_u32 s3, s3, 0
	s_waitcnt vmcnt(0)
	v_mul_f64 v[6:7], v[8:9], v[6:7]
	global_store_b64 v2, v[6:7], s[28:29]
	s_add_u32 s28, s28, 8
	s_addc_u32 s29, s29, 0
	s_cmp_ge_i32 s30, s22
	s_cbranch_scc0 .LBB9_36
; %bb.37:                               ;   in Loop: Header=BB9_4 Depth=1
	s_mov_b32 s2, -1
.LBB9_38:                               ;   in Loop: Header=BB9_4 Depth=1
	v_cndmask_b32_e64 v3, 0, 1, s34
	s_and_b32 vcc_lo, exec_lo, s2
	s_delay_alu instid0(VALU_DEP_1)
	v_cmp_ne_u32_e64 s2, 1, v3
	s_cbranch_vccz .LBB9_42
; %bb.39:                               ;   in Loop: Header=BB9_4 Depth=1
	s_delay_alu instid0(VALU_DEP_1)
	s_and_b32 vcc_lo, exec_lo, s2
	s_cbranch_vccnz .LBB9_42
; %bb.40:                               ;   in Loop: Header=BB9_4 Depth=1
	s_add_u32 s28, s56, s24
	s_addc_u32 s29, s57, s25
	s_mov_b32 s3, s68
.LBB9_41:                               ;   Parent Loop BB9_4 Depth=1
                                        ; =>  This Inner Loop Header: Depth=2
	global_load_b64 v[6:7], v2, s[28:29]
	s_add_i32 s3, s3, 1
	s_waitcnt vmcnt(0)
	v_mul_f64 v[6:7], v[6:7], v[6:7]
	global_store_b64 v2, v[6:7], s[28:29]
	s_add_u32 s28, s28, 8
	s_addc_u32 s29, s29, 0
	s_cmp_lt_i32 s3, s22
	s_cbranch_scc1 .LBB9_41
.LBB9_42:                               ;   in Loop: Header=BB9_4 Depth=1
	s_lshl_b64 s[4:5], s[4:5], 3
                                        ; implicit-def: $sgpr37
	s_delay_alu instid0(SALU_CYCLE_1)
	s_add_u32 s4, s48, s4
	s_addc_u32 s5, s49, s5
	s_clause 0x1
	global_load_b64 v[6:7], v2, s[26:27]
	global_load_b64 v[8:9], v2, s[4:5]
	s_mov_b32 s4, -1
	s_waitcnt vmcnt(0)
	v_cmp_lt_f64_e64 s3, |v[6:7]|, |v[8:9]|
	s_delay_alu instid0(VALU_DEP_1)
	s_and_b32 s3, s3, exec_lo
	s_cselect_b32 s69, s68, s22
	s_cselect_b32 s28, s22, s68
	s_cmp_lt_i32 s67, s50
	s_cselect_b32 s3, -1, 0
	s_cmp_lt_i32 s69, s28
	v_cndmask_b32_e64 v3, 0, 1, s3
	s_delay_alu instid0(VALU_DEP_1)
	v_cmp_ne_u32_e64 s3, 1, v3
	s_cbranch_scc0 .LBB9_45
; %bb.43:                               ;   in Loop: Header=BB9_4 Depth=1
	s_and_not1_b32 vcc_lo, exec_lo, s4
	s_cbranch_vccz .LBB9_47
.LBB9_44:                               ;   in Loop: Header=BB9_4 Depth=1
	v_cmp_lt_f64_e32 vcc_lo, s[14:15], v[4:5]
	s_and_not1_b32 vcc_lo, exec_lo, vcc_lo
	s_cbranch_vccz .LBB9_145
	s_branch .LBB9_148
.LBB9_45:                               ;   in Loop: Header=BB9_4 Depth=1
	s_delay_alu instid0(VALU_DEP_1)
	s_and_b32 vcc_lo, exec_lo, s3
	s_mov_b32 s37, s67
	s_mov_b32 s30, s28
	;; [unrolled: 1-line block ×3, first 2 shown]
	s_cbranch_vccz .LBB9_49
.LBB9_46:                               ;   in Loop: Header=BB9_4 Depth=1
	s_cbranch_execnz .LBB9_44
.LBB9_47:                               ;   in Loop: Header=BB9_4 Depth=1
	s_delay_alu instid0(VALU_DEP_1)
	s_and_b32 vcc_lo, exec_lo, s3
	s_cbranch_vccz .LBB9_97
	s_branch .LBB9_144
.LBB9_48:                               ;   in Loop: Header=BB9_49 Depth=2
	s_and_not1_b32 vcc_lo, exec_lo, s31
	s_mov_b32 s30, s4
	s_cbranch_vccz .LBB9_46
.LBB9_49:                               ;   Parent Loop BB9_4 Depth=1
                                        ; =>  This Loop Header: Depth=2
                                        ;       Child Loop BB9_51 Depth 3
                                        ;       Child Loop BB9_63 Depth 3
	s_mov_b32 s31, s23
	s_max_i32 s36, s69, s30
	s_lshl_b64 s[38:39], s[30:31], 3
	s_mov_b32 s42, s30
	s_add_u32 s34, s58, s38
	s_addc_u32 s35, s59, s39
	s_add_u32 s4, s62, s38
	s_addc_u32 s5, s63, s39
	s_set_inst_prefetch_distance 0x1
	s_branch .LBB9_51
	.p2align	6
.LBB9_50:                               ;   in Loop: Header=BB9_51 Depth=3
	s_delay_alu instid0(VALU_DEP_1)
	s_and_not1_b32 vcc_lo, exec_lo, s43
	s_cbranch_vccz .LBB9_53
.LBB9_51:                               ;   Parent Loop BB9_4 Depth=1
                                        ;     Parent Loop BB9_49 Depth=2
                                        ; =>    This Inner Loop Header: Depth=3
	s_mov_b32 s31, s42
	s_mov_b32 s37, -1
	s_cmp_ge_i32 s42, s69
	s_mov_b32 s43, -1
                                        ; implicit-def: $sgpr42
                                        ; implicit-def: $sgpr40_sgpr41
	s_cbranch_scc1 .LBB9_50
; %bb.52:                               ;   in Loop: Header=BB9_51 Depth=3
	s_clause 0x1
	global_load_b128 v[6:9], v2, s[4:5] offset:-8
	global_load_b64 v[10:11], v2, s[34:35] offset:8
	s_add_u32 s40, s34, 8
	s_addc_u32 s41, s35, 0
	s_add_i32 s42, s31, 1
	s_add_u32 s4, s4, 8
	s_addc_u32 s5, s5, 0
	s_mov_b32 s37, 0
	s_mov_b64 s[34:35], s[40:41]
	s_waitcnt vmcnt(1)
	v_mul_f64 v[6:7], v[6:7], v[8:9]
	s_delay_alu instid0(VALU_DEP_1) | instskip(SKIP_1) | instid1(VALU_DEP_1)
	v_mul_f64 v[6:7], v[0:1], |v[6:7]|
	s_waitcnt vmcnt(0)
	v_cmp_le_f64_e64 s43, |v[10:11]|, v[6:7]
	s_branch .LBB9_50
.LBB9_53:                               ;   in Loop: Header=BB9_49 Depth=2
	s_set_inst_prefetch_distance 0x2
	s_and_not1_b32 vcc_lo, exec_lo, s37
	s_cbranch_vccz .LBB9_55
; %bb.54:                               ;   in Loop: Header=BB9_49 Depth=2
	v_mov_b32_e32 v3, v2
	s_mov_b32 s36, s31
	global_store_b64 v2, v[2:3], s[40:41]
.LBB9_55:                               ;   in Loop: Header=BB9_49 Depth=2
	s_add_i32 s4, s30, 1
	s_cmp_eq_u32 s36, s30
	s_mov_b32 s31, -1
	s_cbranch_scc1 .LBB9_71
; %bb.56:                               ;   in Loop: Header=BB9_49 Depth=2
	s_add_u32 s34, s48, s38
	s_addc_u32 s35, s49, s39
	s_cmp_lg_u32 s36, s4
	global_load_b64 v[6:7], v2, s[34:35]
	s_cbranch_scc0 .LBB9_72
; %bb.57:                               ;   in Loop: Header=BB9_49 Depth=2
	s_mov_b32 s70, 0
	s_cmp_lg_u32 s29, s50
	s_mov_b32 s5, 0
                                        ; implicit-def: $sgpr42
	s_cbranch_scc0 .LBB9_76
; %bb.58:                               ;   in Loop: Header=BB9_49 Depth=2
	s_add_u32 s40, s10, s38
	s_addc_u32 s41, s11, s39
	s_mov_b32 s37, s23
	s_clause 0x1
	global_load_b64 v[8:9], v2, s[40:41]
	global_load_b64 v[10:11], v2, s[34:35] offset:8
	s_waitcnt vmcnt(1)
	v_cmp_gt_f64_e32 vcc_lo, 0x10000000, v[8:9]
	s_waitcnt vmcnt(0)
	v_add_f64 v[10:11], v[10:11], -v[6:7]
	v_cndmask_b32_e64 v3, 0, 1, vcc_lo
	s_and_b32 s4, vcc_lo, exec_lo
	s_cselect_b32 s4, 0xffffff80, 0
	s_delay_alu instid0(VALU_DEP_1) | instskip(NEXT) | instid1(VALU_DEP_1)
	v_lshlrev_b32_e32 v3, 8, v3
	v_ldexp_f64 v[8:9], v[8:9], v3
	s_delay_alu instid0(VALU_DEP_1) | instskip(SKIP_4) | instid1(VALU_DEP_1)
	v_rsq_f64_e32 v[12:13], v[8:9]
	v_cmp_class_f64_e64 vcc_lo, v[8:9], 0x260
	s_waitcnt_depctr 0xfff
	v_mul_f64 v[14:15], v[8:9], v[12:13]
	v_mul_f64 v[12:13], v[12:13], 0.5
	v_fma_f64 v[16:17], -v[12:13], v[14:15], 0.5
	s_delay_alu instid0(VALU_DEP_1) | instskip(SKIP_1) | instid1(VALU_DEP_2)
	v_fma_f64 v[14:15], v[14:15], v[16:17], v[14:15]
	v_fma_f64 v[12:13], v[12:13], v[16:17], v[12:13]
	v_fma_f64 v[16:17], -v[14:15], v[14:15], v[8:9]
	s_delay_alu instid0(VALU_DEP_1) | instskip(NEXT) | instid1(VALU_DEP_1)
	v_fma_f64 v[14:15], v[16:17], v[12:13], v[14:15]
	v_fma_f64 v[16:17], -v[14:15], v[14:15], v[8:9]
	s_delay_alu instid0(VALU_DEP_1) | instskip(NEXT) | instid1(VALU_DEP_1)
	v_fma_f64 v[12:13], v[16:17], v[12:13], v[14:15]
	v_ldexp_f64 v[12:13], v[12:13], s4
	s_delay_alu instid0(VALU_DEP_1) | instskip(NEXT) | instid1(VALU_DEP_1)
	v_dual_cndmask_b32 v8, v12, v8 :: v_dual_cndmask_b32 v9, v13, v9
	v_add_f64 v[12:13], v[8:9], v[8:9]
	s_delay_alu instid0(VALU_DEP_1) | instskip(SKIP_1) | instid1(VALU_DEP_2)
	v_div_scale_f64 v[14:15], null, v[12:13], v[12:13], v[10:11]
	v_div_scale_f64 v[20:21], vcc_lo, v[10:11], v[12:13], v[10:11]
	v_rcp_f64_e32 v[16:17], v[14:15]
	s_waitcnt_depctr 0xfff
	v_fma_f64 v[18:19], -v[14:15], v[16:17], 1.0
	s_delay_alu instid0(VALU_DEP_1) | instskip(NEXT) | instid1(VALU_DEP_1)
	v_fma_f64 v[16:17], v[16:17], v[18:19], v[16:17]
	v_fma_f64 v[18:19], -v[14:15], v[16:17], 1.0
	s_delay_alu instid0(VALU_DEP_1) | instskip(NEXT) | instid1(VALU_DEP_1)
	v_fma_f64 v[16:17], v[16:17], v[18:19], v[16:17]
	v_mul_f64 v[18:19], v[20:21], v[16:17]
	s_delay_alu instid0(VALU_DEP_1) | instskip(NEXT) | instid1(VALU_DEP_1)
	v_fma_f64 v[14:15], -v[14:15], v[18:19], v[20:21]
	v_div_fmas_f64 v[14:15], v[14:15], v[16:17], v[18:19]
	s_delay_alu instid0(VALU_DEP_1) | instskip(NEXT) | instid1(VALU_DEP_1)
	v_div_fixup_f64 v[10:11], v[14:15], v[12:13], v[10:11]
	v_fma_f64 v[12:13], v[10:11], v[10:11], 1.0
	s_delay_alu instid0(VALU_DEP_1) | instskip(SKIP_3) | instid1(VALU_DEP_1)
	v_cmp_gt_f64_e32 vcc_lo, 0x10000000, v[12:13]
	v_cndmask_b32_e64 v3, 0, 1, vcc_lo
	s_and_b32 s4, vcc_lo, exec_lo
	s_cselect_b32 s4, 0xffffff80, 0
	v_lshlrev_b32_e32 v3, 8, v3
	s_delay_alu instid0(VALU_DEP_1) | instskip(NEXT) | instid1(VALU_DEP_1)
	v_ldexp_f64 v[12:13], v[12:13], v3
	v_rsq_f64_e32 v[14:15], v[12:13]
	v_cmp_class_f64_e64 vcc_lo, v[12:13], 0x260
	s_waitcnt_depctr 0xfff
	v_mul_f64 v[16:17], v[12:13], v[14:15]
	v_mul_f64 v[14:15], v[14:15], 0.5
	s_delay_alu instid0(VALU_DEP_1) | instskip(NEXT) | instid1(VALU_DEP_1)
	v_fma_f64 v[18:19], -v[14:15], v[16:17], 0.5
	v_fma_f64 v[16:17], v[16:17], v[18:19], v[16:17]
	v_fma_f64 v[14:15], v[14:15], v[18:19], v[14:15]
	s_delay_alu instid0(VALU_DEP_2) | instskip(NEXT) | instid1(VALU_DEP_1)
	v_fma_f64 v[18:19], -v[16:17], v[16:17], v[12:13]
	v_fma_f64 v[16:17], v[18:19], v[14:15], v[16:17]
	s_delay_alu instid0(VALU_DEP_1) | instskip(NEXT) | instid1(VALU_DEP_1)
	v_fma_f64 v[18:19], -v[16:17], v[16:17], v[12:13]
	v_fma_f64 v[14:15], v[18:19], v[14:15], v[16:17]
	s_delay_alu instid0(VALU_DEP_1) | instskip(SKIP_1) | instid1(SALU_CYCLE_1)
	v_ldexp_f64 v[14:15], v[14:15], s4
	s_lshl_b64 s[4:5], s[36:37], 3
	s_add_u32 s4, s48, s4
	s_addc_u32 s5, s49, s5
	s_cmp_le_i32 s36, s30
	global_load_b64 v[18:19], v2, s[4:5]
	v_dual_cndmask_b32 v3, v15, v13 :: v_dual_cndmask_b32 v12, v14, v12
	v_cmp_nle_f64_e32 vcc_lo, 0, v[10:11]
	s_delay_alu instid0(VALU_DEP_2) | instskip(SKIP_1) | instid1(VALU_DEP_1)
	v_and_b32_e32 v13, 0x7fffffff, v3
	v_or_b32_e32 v3, 0x80000000, v3
	v_cndmask_b32_e32 v13, v13, v3, vcc_lo
	s_delay_alu instid0(VALU_DEP_1) | instskip(NEXT) | instid1(VALU_DEP_1)
	v_add_f64 v[10:11], v[10:11], v[12:13]
	v_div_scale_f64 v[12:13], null, v[10:11], v[10:11], v[8:9]
	s_delay_alu instid0(VALU_DEP_1) | instskip(SKIP_2) | instid1(VALU_DEP_1)
	v_rcp_f64_e32 v[14:15], v[12:13]
	s_waitcnt_depctr 0xfff
	v_fma_f64 v[16:17], -v[12:13], v[14:15], 1.0
	v_fma_f64 v[14:15], v[14:15], v[16:17], v[14:15]
	s_delay_alu instid0(VALU_DEP_1) | instskip(NEXT) | instid1(VALU_DEP_1)
	v_fma_f64 v[16:17], -v[12:13], v[14:15], 1.0
	v_fma_f64 v[14:15], v[14:15], v[16:17], v[14:15]
	v_div_scale_f64 v[16:17], vcc_lo, v[8:9], v[10:11], v[8:9]
	s_delay_alu instid0(VALU_DEP_1) | instskip(NEXT) | instid1(VALU_DEP_1)
	v_mul_f64 v[20:21], v[16:17], v[14:15]
	v_fma_f64 v[12:13], -v[12:13], v[20:21], v[16:17]
	s_delay_alu instid0(VALU_DEP_1) | instskip(NEXT) | instid1(VALU_DEP_1)
	v_div_fmas_f64 v[12:13], v[12:13], v[14:15], v[20:21]
	v_div_fixup_f64 v[8:9], v[12:13], v[10:11], v[8:9]
	v_mov_b32_e32 v12, 0
	v_mov_b32_e32 v13, 0
	s_delay_alu instid0(VALU_DEP_3) | instskip(SKIP_1) | instid1(VALU_DEP_1)
	v_add_f64 v[8:9], v[6:7], -v[8:9]
	s_waitcnt vmcnt(0)
	v_add_f64 v[14:15], v[18:19], -v[8:9]
	s_delay_alu instid0(VALU_DEP_1)
	v_mul_f64 v[16:17], v[14:15], v[14:15]
	s_cbranch_scc1 .LBB9_75
; %bb.59:                               ;   in Loop: Header=BB9_49 Depth=2
	s_ashr_i32 s37, s36, 31
	s_delay_alu instid0(SALU_CYCLE_1) | instskip(NEXT) | instid1(SALU_CYCLE_1)
	s_lshl_b64 s[42:43], s[36:37], 3
	s_add_u32 s4, s52, s42
	s_addc_u32 s5, s53, s43
	global_load_b64 v[10:11], v2, s[4:5]
	s_add_u32 s4, s54, s42
	s_addc_u32 s5, s55, s43
	global_load_b64 v[20:21], v2, s[4:5]
	s_waitcnt vmcnt(1)
	v_add_f64 v[18:19], v[16:17], v[10:11]
	s_delay_alu instid0(VALU_DEP_1) | instskip(SKIP_2) | instid1(VALU_DEP_3)
	v_div_scale_f64 v[12:13], null, v[18:19], v[18:19], v[16:17]
	v_div_scale_f64 v[22:23], null, v[18:19], v[18:19], v[10:11]
	v_div_scale_f64 v[32:33], vcc_lo, v[16:17], v[18:19], v[16:17]
	v_rcp_f64_e32 v[24:25], v[12:13]
	s_delay_alu instid0(VALU_DEP_2) | instskip(SKIP_3) | instid1(VALU_DEP_2)
	v_rcp_f64_e32 v[26:27], v[22:23]
	s_waitcnt_depctr 0xfff
	v_fma_f64 v[28:29], -v[12:13], v[24:25], 1.0
	v_fma_f64 v[30:31], -v[22:23], v[26:27], 1.0
	v_fma_f64 v[24:25], v[24:25], v[28:29], v[24:25]
	s_delay_alu instid0(VALU_DEP_2) | instskip(NEXT) | instid1(VALU_DEP_2)
	v_fma_f64 v[26:27], v[26:27], v[30:31], v[26:27]
	v_fma_f64 v[28:29], -v[12:13], v[24:25], 1.0
	s_delay_alu instid0(VALU_DEP_2) | instskip(NEXT) | instid1(VALU_DEP_2)
	v_fma_f64 v[30:31], -v[22:23], v[26:27], 1.0
	v_fma_f64 v[24:25], v[24:25], v[28:29], v[24:25]
	v_div_scale_f64 v[28:29], s4, v[10:11], v[18:19], v[10:11]
	s_delay_alu instid0(VALU_DEP_3) | instskip(NEXT) | instid1(VALU_DEP_3)
	v_fma_f64 v[26:27], v[26:27], v[30:31], v[26:27]
	v_mul_f64 v[30:31], v[32:33], v[24:25]
	s_delay_alu instid0(VALU_DEP_2) | instskip(NEXT) | instid1(VALU_DEP_2)
	v_mul_f64 v[34:35], v[28:29], v[26:27]
	v_fma_f64 v[12:13], -v[12:13], v[30:31], v[32:33]
	s_delay_alu instid0(VALU_DEP_2) | instskip(NEXT) | instid1(VALU_DEP_2)
	v_fma_f64 v[22:23], -v[22:23], v[34:35], v[28:29]
	v_div_fmas_f64 v[24:25], v[12:13], v[24:25], v[30:31]
	s_mov_b32 vcc_lo, s4
	s_add_u32 s4, s48, s42
	s_delay_alu instid0(VALU_DEP_2) | instskip(SKIP_3) | instid1(VALU_DEP_3)
	v_div_fmas_f64 v[12:13], v[22:23], v[26:27], v[34:35]
	s_waitcnt vmcnt(0)
	v_add_f64 v[22:23], v[20:21], -v[8:9]
	s_addc_u32 s5, s49, s43
	v_div_fixup_f64 v[16:17], v[24:25], v[18:19], v[16:17]
	s_delay_alu instid0(VALU_DEP_3) | instskip(NEXT) | instid1(VALU_DEP_2)
	v_div_fixup_f64 v[12:13], v[12:13], v[18:19], v[10:11]
	v_cmp_eq_f64_e32 vcc_lo, 0, v[16:17]
	s_delay_alu instid0(VALU_DEP_2) | instskip(SKIP_1) | instid1(VALU_DEP_1)
	v_mul_f64 v[18:19], v[14:15], v[12:13]
	s_and_b32 vcc_lo, exec_lo, vcc_lo
	v_fma_f64 v[18:19], v[16:17], v[22:23], -v[18:19]
	s_delay_alu instid0(VALU_DEP_1) | instskip(NEXT) | instid1(VALU_DEP_1)
	v_add_f64 v[20:21], v[20:21], -v[18:19]
	v_add_f64 v[14:15], v[14:15], v[20:21]
	global_store_b64 v2, v[14:15], s[4:5]
	s_cbranch_vccnz .LBB9_61
; %bb.60:                               ;   in Loop: Header=BB9_49 Depth=2
	v_mul_f64 v[10:11], v[18:19], v[18:19]
	s_delay_alu instid0(VALU_DEP_1) | instskip(NEXT) | instid1(VALU_DEP_1)
	v_div_scale_f64 v[14:15], null, v[16:17], v[16:17], v[10:11]
	v_rcp_f64_e32 v[20:21], v[14:15]
	s_waitcnt_depctr 0xfff
	v_fma_f64 v[22:23], -v[14:15], v[20:21], 1.0
	s_delay_alu instid0(VALU_DEP_1) | instskip(NEXT) | instid1(VALU_DEP_1)
	v_fma_f64 v[20:21], v[20:21], v[22:23], v[20:21]
	v_fma_f64 v[22:23], -v[14:15], v[20:21], 1.0
	s_delay_alu instid0(VALU_DEP_1) | instskip(SKIP_1) | instid1(VALU_DEP_1)
	v_fma_f64 v[20:21], v[20:21], v[22:23], v[20:21]
	v_div_scale_f64 v[22:23], vcc_lo, v[10:11], v[16:17], v[10:11]
	v_mul_f64 v[24:25], v[22:23], v[20:21]
	s_delay_alu instid0(VALU_DEP_1) | instskip(NEXT) | instid1(VALU_DEP_1)
	v_fma_f64 v[14:15], -v[14:15], v[24:25], v[22:23]
	v_div_fmas_f64 v[14:15], v[14:15], v[20:21], v[24:25]
	s_delay_alu instid0(VALU_DEP_1)
	v_div_fixup_f64 v[10:11], v[14:15], v[16:17], v[10:11]
.LBB9_61:                               ;   in Loop: Header=BB9_49 Depth=2
	s_add_i32 s4, s36, -1
	s_delay_alu instid0(SALU_CYCLE_1)
	s_cmp_le_i32 s4, s30
	s_cbranch_scc1 .LBB9_73
; %bb.62:                               ;   in Loop: Header=BB9_49 Depth=2
	s_add_i32 s4, s36, -2
	s_mov_b32 s37, -1
	s_ashr_i32 s5, s4, 31
	s_delay_alu instid0(SALU_CYCLE_1) | instskip(NEXT) | instid1(SALU_CYCLE_1)
	s_lshl_b64 s[4:5], s[4:5], 3
	s_add_u32 s44, s62, s4
	s_addc_u32 s45, s63, s5
	s_add_u32 s46, s64, s4
	s_addc_u32 s47, s65, s5
.LBB9_63:                               ;   Parent Loop BB9_4 Depth=1
                                        ;     Parent Loop BB9_49 Depth=2
                                        ; =>    This Inner Loop Header: Depth=3
	global_load_b64 v[20:21], v2, s[46:47] offset:-8
	s_add_u32 s42, s46, -8
	s_addc_u32 s43, s47, -1
	s_cmp_eq_u32 s37, 0
	s_waitcnt vmcnt(0)
	v_add_f64 v[14:15], v[10:11], v[20:21]
	s_cbranch_scc1 .LBB9_65
; %bb.64:                               ;   in Loop: Header=BB9_63 Depth=3
	s_delay_alu instid0(VALU_DEP_1)
	v_mul_f64 v[12:13], v[12:13], v[14:15]
	global_store_b64 v2, v[12:13], s[46:47]
.LBB9_65:                               ;   in Loop: Header=BB9_63 Depth=3
	s_delay_alu instid0(VALU_DEP_1)
	v_div_scale_f64 v[12:13], null, v[14:15], v[14:15], v[10:11]
	v_div_scale_f64 v[22:23], null, v[14:15], v[14:15], v[20:21]
	global_load_b64 v[28:29], v2, s[44:45] offset:-8
	v_div_scale_f64 v[34:35], vcc_lo, v[10:11], v[14:15], v[10:11]
	v_rcp_f64_e32 v[24:25], v[12:13]
	v_rcp_f64_e32 v[26:27], v[22:23]
	s_waitcnt_depctr 0xfff
	v_fma_f64 v[30:31], -v[12:13], v[24:25], 1.0
	v_fma_f64 v[32:33], -v[22:23], v[26:27], 1.0
	s_delay_alu instid0(VALU_DEP_2) | instskip(NEXT) | instid1(VALU_DEP_2)
	v_fma_f64 v[24:25], v[24:25], v[30:31], v[24:25]
	v_fma_f64 v[26:27], v[26:27], v[32:33], v[26:27]
	s_delay_alu instid0(VALU_DEP_2) | instskip(NEXT) | instid1(VALU_DEP_2)
	v_fma_f64 v[30:31], -v[12:13], v[24:25], 1.0
	v_fma_f64 v[32:33], -v[22:23], v[26:27], 1.0
	s_delay_alu instid0(VALU_DEP_2) | instskip(SKIP_1) | instid1(VALU_DEP_3)
	v_fma_f64 v[24:25], v[24:25], v[30:31], v[24:25]
	v_div_scale_f64 v[30:31], s4, v[20:21], v[14:15], v[20:21]
	v_fma_f64 v[26:27], v[26:27], v[32:33], v[26:27]
	s_delay_alu instid0(VALU_DEP_3) | instskip(NEXT) | instid1(VALU_DEP_2)
	v_mul_f64 v[32:33], v[34:35], v[24:25]
	v_mul_f64 v[36:37], v[30:31], v[26:27]
	s_delay_alu instid0(VALU_DEP_2) | instskip(NEXT) | instid1(VALU_DEP_2)
	v_fma_f64 v[12:13], -v[12:13], v[32:33], v[34:35]
	v_fma_f64 v[22:23], -v[22:23], v[36:37], v[30:31]
	s_delay_alu instid0(VALU_DEP_2) | instskip(SKIP_2) | instid1(VALU_DEP_2)
	v_div_fmas_f64 v[24:25], v[12:13], v[24:25], v[32:33]
	s_mov_b32 vcc_lo, s4
	s_add_u32 s4, s44, -8
	v_div_fmas_f64 v[12:13], v[22:23], v[26:27], v[36:37]
	s_addc_u32 s5, s45, -1
	s_waitcnt vmcnt(0)
	v_add_f64 v[26:27], v[28:29], -v[8:9]
	s_delay_alu instid0(VALU_DEP_3) | instskip(NEXT) | instid1(VALU_DEP_3)
	v_div_fixup_f64 v[22:23], v[24:25], v[14:15], v[10:11]
	v_div_fixup_f64 v[12:13], v[12:13], v[14:15], v[20:21]
	s_delay_alu instid0(VALU_DEP_2) | instskip(NEXT) | instid1(VALU_DEP_2)
	v_cmp_eq_f64_e32 vcc_lo, 0, v[22:23]
	v_mul_f64 v[10:11], v[18:19], v[12:13]
	s_and_b32 vcc_lo, exec_lo, vcc_lo
	s_delay_alu instid0(VALU_DEP_1) | instskip(NEXT) | instid1(VALU_DEP_1)
	v_fma_f64 v[14:15], v[22:23], v[26:27], -v[10:11]
	v_add_f64 v[10:11], v[28:29], -v[14:15]
	s_delay_alu instid0(VALU_DEP_1)
	v_add_f64 v[10:11], v[18:19], v[10:11]
	global_store_b64 v2, v[10:11], s[44:45]
	s_cbranch_vccz .LBB9_70
; %bb.66:                               ;   in Loop: Header=BB9_63 Depth=3
	v_mul_f64 v[10:11], v[16:17], v[20:21]
	s_cbranch_execnz .LBB9_68
.LBB9_67:                               ;   in Loop: Header=BB9_63 Depth=3
	v_mul_f64 v[10:11], v[14:15], v[14:15]
	s_delay_alu instid0(VALU_DEP_1) | instskip(NEXT) | instid1(VALU_DEP_1)
	v_div_scale_f64 v[16:17], null, v[22:23], v[22:23], v[10:11]
	v_rcp_f64_e32 v[18:19], v[16:17]
	s_waitcnt_depctr 0xfff
	v_fma_f64 v[20:21], -v[16:17], v[18:19], 1.0
	s_delay_alu instid0(VALU_DEP_1) | instskip(NEXT) | instid1(VALU_DEP_1)
	v_fma_f64 v[18:19], v[18:19], v[20:21], v[18:19]
	v_fma_f64 v[20:21], -v[16:17], v[18:19], 1.0
	s_delay_alu instid0(VALU_DEP_1) | instskip(SKIP_1) | instid1(VALU_DEP_1)
	v_fma_f64 v[18:19], v[18:19], v[20:21], v[18:19]
	v_div_scale_f64 v[20:21], vcc_lo, v[10:11], v[22:23], v[10:11]
	v_mul_f64 v[24:25], v[20:21], v[18:19]
	s_delay_alu instid0(VALU_DEP_1) | instskip(NEXT) | instid1(VALU_DEP_1)
	v_fma_f64 v[16:17], -v[16:17], v[24:25], v[20:21]
	v_div_fmas_f64 v[16:17], v[16:17], v[18:19], v[24:25]
	s_delay_alu instid0(VALU_DEP_1)
	v_div_fixup_f64 v[10:11], v[16:17], v[22:23], v[10:11]
.LBB9_68:                               ;   in Loop: Header=BB9_63 Depth=3
	s_add_i32 s37, s37, -1
	s_delay_alu instid0(SALU_CYCLE_1) | instskip(NEXT) | instid1(SALU_CYCLE_1)
	s_add_i32 s44, s36, s37
	s_cmp_le_i32 s44, s30
	s_cbranch_scc1 .LBB9_74
; %bb.69:                               ;   in Loop: Header=BB9_63 Depth=3
	v_dual_mov_b32 v16, v22 :: v_dual_mov_b32 v17, v23
	v_dual_mov_b32 v19, v15 :: v_dual_mov_b32 v18, v14
	s_mov_b64 s[46:47], s[42:43]
	s_mov_b64 s[44:45], s[4:5]
	s_branch .LBB9_63
.LBB9_70:                               ;   in Loop: Header=BB9_63 Depth=3
                                        ; implicit-def: $vgpr10_vgpr11
	s_branch .LBB9_67
.LBB9_71:                               ;   in Loop: Header=BB9_49 Depth=2
                                        ; implicit-def: $sgpr37
	s_cbranch_execz .LBB9_48
	s_branch .LBB9_95
.LBB9_72:                               ;   in Loop: Header=BB9_49 Depth=2
	s_mov_b32 s5, 0
                                        ; implicit-def: $sgpr37
                                        ; implicit-def: $sgpr4
                                        ; implicit-def: $sgpr42
	s_cbranch_execnz .LBB9_77
	s_branch .LBB9_94
.LBB9_73:                               ;   in Loop: Header=BB9_49 Depth=2
	v_dual_mov_b32 v14, v18 :: v_dual_mov_b32 v15, v19
.LBB9_74:                               ;   in Loop: Header=BB9_49 Depth=2
	s_delay_alu instid0(VALU_DEP_1)
	v_dual_mov_b32 v17, v11 :: v_dual_mov_b32 v16, v10
.LBB9_75:                               ;   in Loop: Header=BB9_49 Depth=2
	s_delay_alu instid0(VALU_DEP_1) | instskip(NEXT) | instid1(VALU_DEP_3)
	v_mul_f64 v[10:11], v[12:13], v[16:17]
	v_add_f64 v[8:9], v[8:9], v[14:15]
	s_add_i32 s42, s29, 1
	s_mov_b32 s5, -1
	s_clause 0x1
	global_store_b64 v2, v[10:11], s[40:41]
	global_store_b64 v2, v[8:9], s[34:35]
.LBB9_76:                               ;   in Loop: Header=BB9_49 Depth=2
	s_mov_b32 s37, s50
	s_mov_b32 s4, s30
	s_and_b32 vcc_lo, exec_lo, s70
	s_cbranch_vccz .LBB9_94
.LBB9_77:                               ;   in Loop: Header=BB9_49 Depth=2
	s_add_u32 s38, s10, s38
	s_addc_u32 s39, s11, s39
	s_mov_b32 s37, s23
	global_load_b64 v[8:9], v2, s[38:39]
	s_waitcnt vmcnt(0)
	v_cmp_gt_f64_e32 vcc_lo, 0x10000000, v[8:9]
	v_cndmask_b32_e64 v3, 0, 1, vcc_lo
	s_and_b32 s4, vcc_lo, exec_lo
	s_cselect_b32 s40, 0xffffff80, 0
	s_lshl_b64 s[4:5], s[36:37], 3
	s_delay_alu instid0(SALU_CYCLE_1) | instskip(SKIP_4) | instid1(VALU_DEP_1)
	s_add_u32 s36, s48, s4
	v_lshlrev_b32_e32 v3, 8, v3
	s_addc_u32 s37, s49, s5
	global_load_b64 v[10:11], v2, s[36:37]
	v_ldexp_f64 v[8:9], v[8:9], v3
	v_rsq_f64_e32 v[12:13], v[8:9]
	v_cmp_class_f64_e64 vcc_lo, v[8:9], 0x260
	s_waitcnt_depctr 0xfff
	v_mul_f64 v[14:15], v[8:9], v[12:13]
	v_mul_f64 v[12:13], v[12:13], 0.5
	s_delay_alu instid0(VALU_DEP_1) | instskip(NEXT) | instid1(VALU_DEP_1)
	v_fma_f64 v[16:17], -v[12:13], v[14:15], 0.5
	v_fma_f64 v[14:15], v[14:15], v[16:17], v[14:15]
	v_fma_f64 v[12:13], v[12:13], v[16:17], v[12:13]
	s_delay_alu instid0(VALU_DEP_2) | instskip(NEXT) | instid1(VALU_DEP_1)
	v_fma_f64 v[16:17], -v[14:15], v[14:15], v[8:9]
	v_fma_f64 v[14:15], v[16:17], v[12:13], v[14:15]
	s_delay_alu instid0(VALU_DEP_1) | instskip(NEXT) | instid1(VALU_DEP_1)
	v_fma_f64 v[16:17], -v[14:15], v[14:15], v[8:9]
	v_fma_f64 v[12:13], v[16:17], v[12:13], v[14:15]
	s_waitcnt vmcnt(0)
	v_add_f64 v[14:15], v[6:7], -v[10:11]
	s_delay_alu instid0(VALU_DEP_2) | instskip(NEXT) | instid1(VALU_DEP_1)
	v_ldexp_f64 v[12:13], v[12:13], s40
	v_dual_cndmask_b32 v8, v12, v8 :: v_dual_cndmask_b32 v9, v13, v9
	s_delay_alu instid0(VALU_DEP_1) | instskip(NEXT) | instid1(VALU_DEP_1)
	v_add_f64 v[16:17], v[8:9], v[8:9]
	v_cmp_ngt_f64_e64 s4, |v[14:15]|, |v[16:17]|
	s_delay_alu instid0(VALU_DEP_1)
	s_and_b32 vcc_lo, exec_lo, s4
	s_cbranch_vccz .LBB9_80
; %bb.78:                               ;   in Loop: Header=BB9_49 Depth=2
	v_cmp_nlt_f64_e64 s4, |v[14:15]|, |v[16:17]|
	s_delay_alu instid0(VALU_DEP_1)
	s_and_b32 vcc_lo, exec_lo, s4
	s_cbranch_vccz .LBB9_81
; %bb.79:                               ;   in Loop: Header=BB9_49 Depth=2
	v_mul_f64 v[12:13], |v[16:17]|, s[12:13]
	s_cbranch_execz .LBB9_82
	s_branch .LBB9_83
.LBB9_80:                               ;   in Loop: Header=BB9_49 Depth=2
                                        ; implicit-def: $vgpr12_vgpr13
	s_branch .LBB9_84
.LBB9_81:                               ;   in Loop: Header=BB9_49 Depth=2
                                        ; implicit-def: $vgpr12_vgpr13
.LBB9_82:                               ;   in Loop: Header=BB9_49 Depth=2
	v_dual_mov_b32 v12, v14 :: v_dual_and_b32 v13, 0x7fffffff, v15
	v_dual_mov_b32 v18, v16 :: v_dual_and_b32 v19, 0x7fffffff, v17
	s_delay_alu instid0(VALU_DEP_1) | instskip(SKIP_1) | instid1(VALU_DEP_2)
	v_div_scale_f64 v[20:21], null, v[18:19], v[18:19], v[12:13]
	v_div_scale_f64 v[12:13], vcc_lo, v[12:13], v[18:19], v[12:13]
	v_rcp_f64_e32 v[22:23], v[20:21]
	s_waitcnt_depctr 0xfff
	v_fma_f64 v[24:25], -v[20:21], v[22:23], 1.0
	s_delay_alu instid0(VALU_DEP_1) | instskip(NEXT) | instid1(VALU_DEP_1)
	v_fma_f64 v[22:23], v[22:23], v[24:25], v[22:23]
	v_fma_f64 v[24:25], -v[20:21], v[22:23], 1.0
	s_delay_alu instid0(VALU_DEP_1) | instskip(NEXT) | instid1(VALU_DEP_1)
	v_fma_f64 v[18:19], v[22:23], v[24:25], v[22:23]
	v_mul_f64 v[22:23], v[12:13], v[18:19]
	s_delay_alu instid0(VALU_DEP_1) | instskip(NEXT) | instid1(VALU_DEP_1)
	v_fma_f64 v[12:13], -v[20:21], v[22:23], v[12:13]
	v_div_fmas_f64 v[12:13], v[12:13], v[18:19], v[22:23]
	s_delay_alu instid0(VALU_DEP_1) | instskip(NEXT) | instid1(VALU_DEP_1)
	v_div_fixup_f64 v[12:13], v[12:13], |v[16:17]|, |v[14:15]|
	v_fma_f64 v[12:13], v[12:13], v[12:13], 1.0
	s_delay_alu instid0(VALU_DEP_1) | instskip(SKIP_3) | instid1(VALU_DEP_1)
	v_cmp_gt_f64_e32 vcc_lo, 0x10000000, v[12:13]
	v_cndmask_b32_e64 v3, 0, 1, vcc_lo
	s_and_b32 s4, vcc_lo, exec_lo
	s_cselect_b32 s4, 0xffffff80, 0
	v_lshlrev_b32_e32 v3, 8, v3
	s_delay_alu instid0(VALU_DEP_1) | instskip(NEXT) | instid1(VALU_DEP_1)
	v_ldexp_f64 v[12:13], v[12:13], v3
	v_rsq_f64_e32 v[18:19], v[12:13]
	v_cmp_class_f64_e64 vcc_lo, v[12:13], 0x260
	s_waitcnt_depctr 0xfff
	v_mul_f64 v[20:21], v[12:13], v[18:19]
	v_mul_f64 v[18:19], v[18:19], 0.5
	s_delay_alu instid0(VALU_DEP_1) | instskip(NEXT) | instid1(VALU_DEP_1)
	v_fma_f64 v[22:23], -v[18:19], v[20:21], 0.5
	v_fma_f64 v[20:21], v[20:21], v[22:23], v[20:21]
	v_fma_f64 v[18:19], v[18:19], v[22:23], v[18:19]
	s_delay_alu instid0(VALU_DEP_2) | instskip(NEXT) | instid1(VALU_DEP_1)
	v_fma_f64 v[22:23], -v[20:21], v[20:21], v[12:13]
	v_fma_f64 v[20:21], v[22:23], v[18:19], v[20:21]
	s_delay_alu instid0(VALU_DEP_1) | instskip(NEXT) | instid1(VALU_DEP_1)
	v_fma_f64 v[22:23], -v[20:21], v[20:21], v[12:13]
	v_fma_f64 v[18:19], v[22:23], v[18:19], v[20:21]
	s_delay_alu instid0(VALU_DEP_1) | instskip(NEXT) | instid1(VALU_DEP_1)
	v_ldexp_f64 v[18:19], v[18:19], s4
	v_dual_cndmask_b32 v12, v18, v12 :: v_dual_cndmask_b32 v13, v19, v13
	s_delay_alu instid0(VALU_DEP_1)
	v_mul_f64 v[12:13], |v[16:17]|, v[12:13]
.LBB9_83:                               ;   in Loop: Header=BB9_49 Depth=2
	s_cbranch_execnz .LBB9_85
.LBB9_84:                               ;   in Loop: Header=BB9_49 Depth=2
	v_dual_mov_b32 v12, v16 :: v_dual_and_b32 v13, 0x7fffffff, v17
	v_dual_mov_b32 v18, v14 :: v_dual_and_b32 v19, 0x7fffffff, v15
	s_delay_alu instid0(VALU_DEP_1) | instskip(SKIP_1) | instid1(VALU_DEP_2)
	v_div_scale_f64 v[20:21], null, v[18:19], v[18:19], v[12:13]
	v_div_scale_f64 v[12:13], vcc_lo, v[12:13], v[18:19], v[12:13]
	v_rcp_f64_e32 v[22:23], v[20:21]
	s_waitcnt_depctr 0xfff
	v_fma_f64 v[24:25], -v[20:21], v[22:23], 1.0
	s_delay_alu instid0(VALU_DEP_1) | instskip(NEXT) | instid1(VALU_DEP_1)
	v_fma_f64 v[22:23], v[22:23], v[24:25], v[22:23]
	v_fma_f64 v[24:25], -v[20:21], v[22:23], 1.0
	s_delay_alu instid0(VALU_DEP_1) | instskip(NEXT) | instid1(VALU_DEP_1)
	v_fma_f64 v[18:19], v[22:23], v[24:25], v[22:23]
	v_mul_f64 v[22:23], v[12:13], v[18:19]
	s_delay_alu instid0(VALU_DEP_1) | instskip(NEXT) | instid1(VALU_DEP_1)
	v_fma_f64 v[12:13], -v[20:21], v[22:23], v[12:13]
	v_div_fmas_f64 v[12:13], v[12:13], v[18:19], v[22:23]
	s_delay_alu instid0(VALU_DEP_1) | instskip(NEXT) | instid1(VALU_DEP_1)
	v_div_fixup_f64 v[12:13], v[12:13], |v[14:15]|, |v[16:17]|
	v_fma_f64 v[12:13], v[12:13], v[12:13], 1.0
	s_delay_alu instid0(VALU_DEP_1) | instskip(SKIP_3) | instid1(VALU_DEP_1)
	v_cmp_gt_f64_e32 vcc_lo, 0x10000000, v[12:13]
	v_cndmask_b32_e64 v3, 0, 1, vcc_lo
	s_and_b32 s4, vcc_lo, exec_lo
	s_cselect_b32 s4, 0xffffff80, 0
	v_lshlrev_b32_e32 v3, 8, v3
	s_delay_alu instid0(VALU_DEP_1) | instskip(NEXT) | instid1(VALU_DEP_1)
	v_ldexp_f64 v[12:13], v[12:13], v3
	v_rsq_f64_e32 v[16:17], v[12:13]
	v_cmp_class_f64_e64 vcc_lo, v[12:13], 0x260
	s_waitcnt_depctr 0xfff
	v_mul_f64 v[18:19], v[12:13], v[16:17]
	v_mul_f64 v[16:17], v[16:17], 0.5
	s_delay_alu instid0(VALU_DEP_1) | instskip(NEXT) | instid1(VALU_DEP_1)
	v_fma_f64 v[20:21], -v[16:17], v[18:19], 0.5
	v_fma_f64 v[18:19], v[18:19], v[20:21], v[18:19]
	v_fma_f64 v[16:17], v[16:17], v[20:21], v[16:17]
	s_delay_alu instid0(VALU_DEP_2) | instskip(NEXT) | instid1(VALU_DEP_1)
	v_fma_f64 v[20:21], -v[18:19], v[18:19], v[12:13]
	v_fma_f64 v[18:19], v[20:21], v[16:17], v[18:19]
	s_delay_alu instid0(VALU_DEP_1) | instskip(NEXT) | instid1(VALU_DEP_1)
	v_fma_f64 v[20:21], -v[18:19], v[18:19], v[12:13]
	v_fma_f64 v[16:17], v[20:21], v[16:17], v[18:19]
	s_delay_alu instid0(VALU_DEP_1) | instskip(NEXT) | instid1(VALU_DEP_1)
	v_ldexp_f64 v[16:17], v[16:17], s4
	v_dual_cndmask_b32 v12, v16, v12 :: v_dual_cndmask_b32 v13, v17, v13
	s_delay_alu instid0(VALU_DEP_1)
	v_mul_f64 v[12:13], |v[14:15]|, v[12:13]
.LBB9_85:                               ;   in Loop: Header=BB9_49 Depth=2
	v_add_f64 v[16:17], v[6:7], v[10:11]
	v_cmp_gt_f64_e64 vcc_lo, |v[6:7]|, |v[10:11]|
	s_delay_alu instid0(VALU_DEP_2) | instskip(SKIP_2) | instid1(VALU_DEP_3)
	v_cmp_ngt_f64_e64 s4, 0, v[16:17]
	v_dual_cndmask_b32 v15, v7, v11 :: v_dual_cndmask_b32 v14, v6, v10
	v_dual_cndmask_b32 v7, v11, v7 :: v_dual_cndmask_b32 v6, v10, v6
	s_and_b32 vcc_lo, exec_lo, s4
	s_cbranch_vccz .LBB9_88
; %bb.86:                               ;   in Loop: Header=BB9_49 Depth=2
	v_cmp_nlt_f64_e32 vcc_lo, 0, v[16:17]
	s_cbranch_vccz .LBB9_89
; %bb.87:                               ;   in Loop: Header=BB9_49 Depth=2
	v_mul_f64 v[10:11], v[12:13], 0.5
	v_mul_f64 v[18:19], v[12:13], -0.5
	s_cbranch_execz .LBB9_90
	s_branch .LBB9_91
.LBB9_88:                               ;   in Loop: Header=BB9_49 Depth=2
                                        ; implicit-def: $vgpr18_vgpr19
                                        ; implicit-def: $vgpr10_vgpr11
	s_branch .LBB9_92
.LBB9_89:                               ;   in Loop: Header=BB9_49 Depth=2
                                        ; implicit-def: $vgpr18_vgpr19
                                        ; implicit-def: $vgpr10_vgpr11
.LBB9_90:                               ;   in Loop: Header=BB9_49 Depth=2
	v_add_f64 v[10:11], v[16:17], v[12:13]
	s_delay_alu instid0(VALU_DEP_1) | instskip(NEXT) | instid1(VALU_DEP_1)
	v_mul_f64 v[10:11], v[10:11], 0.5
	v_div_scale_f64 v[18:19], null, v[10:11], v[10:11], v[6:7]
	v_div_scale_f64 v[20:21], null, v[10:11], v[10:11], v[8:9]
	v_div_scale_f64 v[30:31], vcc_lo, v[6:7], v[10:11], v[6:7]
	s_delay_alu instid0(VALU_DEP_3) | instskip(NEXT) | instid1(VALU_DEP_2)
	v_rcp_f64_e32 v[22:23], v[18:19]
	v_rcp_f64_e32 v[24:25], v[20:21]
	s_waitcnt_depctr 0xfff
	v_fma_f64 v[26:27], -v[18:19], v[22:23], 1.0
	v_fma_f64 v[28:29], -v[20:21], v[24:25], 1.0
	s_delay_alu instid0(VALU_DEP_2) | instskip(NEXT) | instid1(VALU_DEP_2)
	v_fma_f64 v[22:23], v[22:23], v[26:27], v[22:23]
	v_fma_f64 v[24:25], v[24:25], v[28:29], v[24:25]
	s_delay_alu instid0(VALU_DEP_2) | instskip(NEXT) | instid1(VALU_DEP_2)
	v_fma_f64 v[26:27], -v[18:19], v[22:23], 1.0
	v_fma_f64 v[28:29], -v[20:21], v[24:25], 1.0
	s_delay_alu instid0(VALU_DEP_2) | instskip(SKIP_1) | instid1(VALU_DEP_3)
	v_fma_f64 v[22:23], v[22:23], v[26:27], v[22:23]
	v_div_scale_f64 v[26:27], s4, v[8:9], v[10:11], v[8:9]
	v_fma_f64 v[24:25], v[24:25], v[28:29], v[24:25]
	s_delay_alu instid0(VALU_DEP_3) | instskip(NEXT) | instid1(VALU_DEP_2)
	v_mul_f64 v[28:29], v[30:31], v[22:23]
	v_mul_f64 v[32:33], v[26:27], v[24:25]
	s_delay_alu instid0(VALU_DEP_2) | instskip(NEXT) | instid1(VALU_DEP_2)
	v_fma_f64 v[18:19], -v[18:19], v[28:29], v[30:31]
	v_fma_f64 v[20:21], -v[20:21], v[32:33], v[26:27]
	s_delay_alu instid0(VALU_DEP_2) | instskip(SKIP_1) | instid1(VALU_DEP_2)
	v_div_fmas_f64 v[18:19], v[18:19], v[22:23], v[28:29]
	s_mov_b32 vcc_lo, s4
	v_div_fmas_f64 v[20:21], v[20:21], v[24:25], v[32:33]
	s_delay_alu instid0(VALU_DEP_2) | instskip(NEXT) | instid1(VALU_DEP_2)
	v_div_fixup_f64 v[18:19], v[18:19], v[10:11], v[6:7]
	v_div_fixup_f64 v[20:21], v[20:21], v[10:11], v[8:9]
	s_delay_alu instid0(VALU_DEP_1) | instskip(NEXT) | instid1(VALU_DEP_1)
	v_mul_f64 v[20:21], v[8:9], v[20:21]
	v_fma_f64 v[18:19], v[14:15], v[18:19], -v[20:21]
.LBB9_91:                               ;   in Loop: Header=BB9_49 Depth=2
	s_cbranch_execnz .LBB9_93
.LBB9_92:                               ;   in Loop: Header=BB9_49 Depth=2
	v_add_f64 v[10:11], v[16:17], -v[12:13]
	s_delay_alu instid0(VALU_DEP_1) | instskip(NEXT) | instid1(VALU_DEP_1)
	v_mul_f64 v[10:11], v[10:11], 0.5
	v_div_scale_f64 v[12:13], null, v[10:11], v[10:11], v[6:7]
	v_div_scale_f64 v[16:17], null, v[10:11], v[10:11], v[8:9]
	v_div_scale_f64 v[26:27], vcc_lo, v[6:7], v[10:11], v[6:7]
	s_delay_alu instid0(VALU_DEP_3) | instskip(NEXT) | instid1(VALU_DEP_2)
	v_rcp_f64_e32 v[18:19], v[12:13]
	v_rcp_f64_e32 v[20:21], v[16:17]
	s_waitcnt_depctr 0xfff
	v_fma_f64 v[22:23], -v[12:13], v[18:19], 1.0
	v_fma_f64 v[24:25], -v[16:17], v[20:21], 1.0
	s_delay_alu instid0(VALU_DEP_2) | instskip(NEXT) | instid1(VALU_DEP_2)
	v_fma_f64 v[18:19], v[18:19], v[22:23], v[18:19]
	v_fma_f64 v[20:21], v[20:21], v[24:25], v[20:21]
	s_delay_alu instid0(VALU_DEP_2) | instskip(NEXT) | instid1(VALU_DEP_2)
	v_fma_f64 v[22:23], -v[12:13], v[18:19], 1.0
	v_fma_f64 v[24:25], -v[16:17], v[20:21], 1.0
	s_delay_alu instid0(VALU_DEP_2) | instskip(SKIP_1) | instid1(VALU_DEP_3)
	v_fma_f64 v[18:19], v[18:19], v[22:23], v[18:19]
	v_div_scale_f64 v[22:23], s4, v[8:9], v[10:11], v[8:9]
	v_fma_f64 v[20:21], v[20:21], v[24:25], v[20:21]
	s_delay_alu instid0(VALU_DEP_3) | instskip(NEXT) | instid1(VALU_DEP_2)
	v_mul_f64 v[24:25], v[26:27], v[18:19]
	v_mul_f64 v[28:29], v[22:23], v[20:21]
	s_delay_alu instid0(VALU_DEP_2) | instskip(NEXT) | instid1(VALU_DEP_2)
	v_fma_f64 v[12:13], -v[12:13], v[24:25], v[26:27]
	v_fma_f64 v[16:17], -v[16:17], v[28:29], v[22:23]
	s_delay_alu instid0(VALU_DEP_2) | instskip(SKIP_1) | instid1(VALU_DEP_2)
	v_div_fmas_f64 v[12:13], v[12:13], v[18:19], v[24:25]
	s_mov_b32 vcc_lo, s4
	v_div_fmas_f64 v[16:17], v[16:17], v[20:21], v[28:29]
	s_delay_alu instid0(VALU_DEP_2) | instskip(NEXT) | instid1(VALU_DEP_2)
	v_div_fixup_f64 v[6:7], v[12:13], v[10:11], v[6:7]
	v_div_fixup_f64 v[16:17], v[16:17], v[10:11], v[8:9]
	s_delay_alu instid0(VALU_DEP_1) | instskip(NEXT) | instid1(VALU_DEP_1)
	v_mul_f64 v[8:9], v[8:9], v[16:17]
	v_fma_f64 v[18:19], v[14:15], v[6:7], -v[8:9]
.LBB9_93:                               ;   in Loop: Header=BB9_49 Depth=2
	v_mov_b32_e32 v3, v2
	s_add_i32 s4, s30, 2
	s_mov_b32 s5, -1
	s_mov_b32 s42, s29
	s_clause 0x2
	global_store_b64 v2, v[10:11], s[34:35]
	global_store_b64 v2, v[18:19], s[36:37]
	;; [unrolled: 1-line block ×3, first 2 shown]
                                        ; implicit-def: $sgpr37
.LBB9_94:                               ;   in Loop: Header=BB9_49 Depth=2
	s_mov_b32 s29, s42
	s_and_b32 vcc_lo, exec_lo, s5
	s_cbranch_vccz .LBB9_48
.LBB9_95:                               ;   in Loop: Header=BB9_49 Depth=2
	s_cmp_gt_i32 s4, s69
	s_mov_b32 s37, s29
	s_cselect_b32 s5, -1, 0
	s_cmp_ge_i32 s29, s50
	s_cselect_b32 s30, -1, 0
	s_delay_alu instid0(SALU_CYCLE_1)
	s_or_b32 s31, s5, s30
	s_branch .LBB9_48
.LBB9_96:                               ;   in Loop: Header=BB9_97 Depth=2
	s_and_not1_b32 vcc_lo, exec_lo, s29
	s_mov_b32 s28, s3
	s_cbranch_vccz .LBB9_143
.LBB9_97:                               ;   Parent Loop BB9_4 Depth=1
                                        ; =>  This Loop Header: Depth=2
                                        ;       Child Loop BB9_99 Depth 3
                                        ;       Child Loop BB9_112 Depth 3
	s_ashr_i32 s29, s28, 31
	s_min_i32 s30, s69, s28
	s_lshl_b64 s[34:35], s[28:29], 3
	s_mov_b32 s31, s28
	s_add_u32 s36, s60, s34
	s_addc_u32 s37, s61, s35
	s_add_u32 s4, s64, s34
	s_addc_u32 s5, s65, s35
	s_branch .LBB9_99
	.p2align	6
.LBB9_98:                               ;   in Loop: Header=BB9_99 Depth=3
	s_delay_alu instid0(VALU_DEP_1)
	s_and_not1_b32 vcc_lo, exec_lo, s38
	s_cbranch_vccz .LBB9_101
.LBB9_99:                               ;   Parent Loop BB9_4 Depth=1
                                        ;     Parent Loop BB9_97 Depth=2
                                        ; =>    This Inner Loop Header: Depth=3
	s_mov_b32 s3, s31
	s_mov_b32 s29, -1
	s_cmp_le_i32 s31, s69
	s_mov_b32 s38, -1
                                        ; implicit-def: $sgpr31
	s_cbranch_scc1 .LBB9_98
; %bb.100:                              ;   in Loop: Header=BB9_99 Depth=3
	s_clause 0x1
	global_load_b128 v[6:9], v2, s[36:37] offset:-8
	global_load_b64 v[10:11], v2, s[4:5] offset:-16
	s_add_i32 s31, s3, -1
	s_add_u32 s36, s36, -8
	s_addc_u32 s37, s37, -1
	s_add_u32 s4, s4, -8
	s_addc_u32 s5, s5, -1
	s_mov_b32 s29, 0
	s_waitcnt vmcnt(1)
	v_mul_f64 v[6:7], v[8:9], v[6:7]
	s_delay_alu instid0(VALU_DEP_1) | instskip(SKIP_1) | instid1(VALU_DEP_1)
	v_mul_f64 v[6:7], v[0:1], |v[6:7]|
	s_waitcnt vmcnt(0)
	v_cmp_le_f64_e64 s38, |v[10:11]|, v[6:7]
	s_branch .LBB9_98
.LBB9_101:                              ;   in Loop: Header=BB9_97 Depth=2
	s_and_not1_b32 vcc_lo, exec_lo, s29
	s_cbranch_vccz .LBB9_103
; %bb.102:                              ;   in Loop: Header=BB9_97 Depth=2
	v_mov_b32_e32 v3, v2
	s_mov_b32 s30, s3
	global_store_b64 v2, v[2:3], s[4:5] offset:-8
.LBB9_103:                              ;   in Loop: Header=BB9_97 Depth=2
	s_add_i32 s3, s28, -1
	s_cmp_eq_u32 s30, s28
	s_mov_b32 s29, -1
	s_cbranch_scc1 .LBB9_118
; %bb.104:                              ;   in Loop: Header=BB9_97 Depth=2
	s_add_u32 s4, s48, s34
	s_addc_u32 s5, s49, s35
	s_cmp_lg_u32 s30, s3
	global_load_b64 v[6:7], v2, s[4:5]
	s_cbranch_scc0 .LBB9_119
; %bb.105:                              ;   in Loop: Header=BB9_97 Depth=2
	s_mov_b32 s40, 0
	s_cmp_lg_u32 s67, s50
	s_mov_b32 s36, 0
                                        ; implicit-def: $sgpr37
	s_cbranch_scc0 .LBB9_123
; %bb.106:                              ;   in Loop: Header=BB9_97 Depth=2
	s_add_u32 s34, s52, s34
	s_addc_u32 s35, s53, s35
	s_clause 0x1
	global_load_b64 v[8:9], v2, s[34:35]
	global_load_b64 v[10:11], v2, s[4:5] offset:-8
	s_waitcnt vmcnt(1)
	v_cmp_gt_f64_e32 vcc_lo, 0x10000000, v[8:9]
	s_waitcnt vmcnt(0)
	v_add_f64 v[10:11], v[10:11], -v[6:7]
	v_cndmask_b32_e64 v3, 0, 1, vcc_lo
	s_and_b32 s3, vcc_lo, exec_lo
	s_cselect_b32 s3, 0xffffff80, 0
	s_delay_alu instid0(VALU_DEP_1) | instskip(NEXT) | instid1(VALU_DEP_1)
	v_lshlrev_b32_e32 v3, 8, v3
	v_ldexp_f64 v[8:9], v[8:9], v3
	s_delay_alu instid0(VALU_DEP_1) | instskip(SKIP_4) | instid1(VALU_DEP_1)
	v_rsq_f64_e32 v[12:13], v[8:9]
	v_cmp_class_f64_e64 vcc_lo, v[8:9], 0x260
	s_waitcnt_depctr 0xfff
	v_mul_f64 v[14:15], v[8:9], v[12:13]
	v_mul_f64 v[12:13], v[12:13], 0.5
	v_fma_f64 v[16:17], -v[12:13], v[14:15], 0.5
	s_delay_alu instid0(VALU_DEP_1) | instskip(SKIP_1) | instid1(VALU_DEP_2)
	v_fma_f64 v[14:15], v[14:15], v[16:17], v[14:15]
	v_fma_f64 v[12:13], v[12:13], v[16:17], v[12:13]
	v_fma_f64 v[16:17], -v[14:15], v[14:15], v[8:9]
	s_delay_alu instid0(VALU_DEP_1) | instskip(NEXT) | instid1(VALU_DEP_1)
	v_fma_f64 v[14:15], v[16:17], v[12:13], v[14:15]
	v_fma_f64 v[16:17], -v[14:15], v[14:15], v[8:9]
	s_delay_alu instid0(VALU_DEP_1) | instskip(NEXT) | instid1(VALU_DEP_1)
	v_fma_f64 v[12:13], v[16:17], v[12:13], v[14:15]
	v_ldexp_f64 v[12:13], v[12:13], s3
	s_delay_alu instid0(VALU_DEP_1) | instskip(NEXT) | instid1(VALU_DEP_1)
	v_dual_cndmask_b32 v8, v12, v8 :: v_dual_cndmask_b32 v9, v13, v9
	v_add_f64 v[12:13], v[8:9], v[8:9]
	s_delay_alu instid0(VALU_DEP_1) | instskip(SKIP_1) | instid1(VALU_DEP_2)
	v_div_scale_f64 v[14:15], null, v[12:13], v[12:13], v[10:11]
	v_div_scale_f64 v[20:21], vcc_lo, v[10:11], v[12:13], v[10:11]
	v_rcp_f64_e32 v[16:17], v[14:15]
	s_waitcnt_depctr 0xfff
	v_fma_f64 v[18:19], -v[14:15], v[16:17], 1.0
	s_delay_alu instid0(VALU_DEP_1) | instskip(NEXT) | instid1(VALU_DEP_1)
	v_fma_f64 v[16:17], v[16:17], v[18:19], v[16:17]
	v_fma_f64 v[18:19], -v[14:15], v[16:17], 1.0
	s_delay_alu instid0(VALU_DEP_1) | instskip(NEXT) | instid1(VALU_DEP_1)
	v_fma_f64 v[16:17], v[16:17], v[18:19], v[16:17]
	v_mul_f64 v[18:19], v[20:21], v[16:17]
	s_delay_alu instid0(VALU_DEP_1) | instskip(NEXT) | instid1(VALU_DEP_1)
	v_fma_f64 v[14:15], -v[14:15], v[18:19], v[20:21]
	v_div_fmas_f64 v[14:15], v[14:15], v[16:17], v[18:19]
	s_delay_alu instid0(VALU_DEP_1) | instskip(NEXT) | instid1(VALU_DEP_1)
	v_div_fixup_f64 v[10:11], v[14:15], v[12:13], v[10:11]
	v_fma_f64 v[12:13], v[10:11], v[10:11], 1.0
	s_delay_alu instid0(VALU_DEP_1) | instskip(SKIP_4) | instid1(VALU_DEP_1)
	v_cmp_gt_f64_e32 vcc_lo, 0x10000000, v[12:13]
	v_cndmask_b32_e64 v3, 0, 1, vcc_lo
	s_and_b32 s3, vcc_lo, exec_lo
	s_cselect_b32 s3, 0xffffff80, 0
	s_ashr_i32 s31, s30, 31
	v_lshlrev_b32_e32 v3, 8, v3
	s_lshl_b64 s[38:39], s[30:31], 3
	s_delay_alu instid0(SALU_CYCLE_1) | instskip(SKIP_1) | instid1(VALU_DEP_1)
	s_add_u32 s36, s48, s38
	s_addc_u32 s37, s49, s39
	v_ldexp_f64 v[12:13], v[12:13], v3
	s_cmp_ge_i32 s30, s28
	s_delay_alu instid0(VALU_DEP_1) | instskip(SKIP_4) | instid1(VALU_DEP_1)
	v_rsq_f64_e32 v[14:15], v[12:13]
	v_cmp_class_f64_e64 vcc_lo, v[12:13], 0x260
	s_waitcnt_depctr 0xfff
	v_mul_f64 v[16:17], v[12:13], v[14:15]
	v_mul_f64 v[14:15], v[14:15], 0.5
	v_fma_f64 v[18:19], -v[14:15], v[16:17], 0.5
	s_delay_alu instid0(VALU_DEP_1) | instskip(SKIP_1) | instid1(VALU_DEP_2)
	v_fma_f64 v[16:17], v[16:17], v[18:19], v[16:17]
	v_fma_f64 v[14:15], v[14:15], v[18:19], v[14:15]
	v_fma_f64 v[18:19], -v[16:17], v[16:17], v[12:13]
	s_delay_alu instid0(VALU_DEP_1) | instskip(NEXT) | instid1(VALU_DEP_1)
	v_fma_f64 v[16:17], v[18:19], v[14:15], v[16:17]
	v_fma_f64 v[18:19], -v[16:17], v[16:17], v[12:13]
	s_delay_alu instid0(VALU_DEP_1) | instskip(SKIP_2) | instid1(VALU_DEP_1)
	v_fma_f64 v[14:15], v[18:19], v[14:15], v[16:17]
	global_load_b64 v[18:19], v2, s[36:37]
	v_ldexp_f64 v[14:15], v[14:15], s3
	v_dual_cndmask_b32 v3, v15, v13 :: v_dual_cndmask_b32 v12, v14, v12
	v_cmp_nle_f64_e32 vcc_lo, 0, v[10:11]
	s_delay_alu instid0(VALU_DEP_2) | instskip(SKIP_1) | instid1(VALU_DEP_1)
	v_and_b32_e32 v13, 0x7fffffff, v3
	v_or_b32_e32 v3, 0x80000000, v3
	v_cndmask_b32_e32 v13, v13, v3, vcc_lo
	s_delay_alu instid0(VALU_DEP_1) | instskip(NEXT) | instid1(VALU_DEP_1)
	v_add_f64 v[10:11], v[10:11], v[12:13]
	v_div_scale_f64 v[12:13], null, v[10:11], v[10:11], v[8:9]
	s_delay_alu instid0(VALU_DEP_1) | instskip(SKIP_2) | instid1(VALU_DEP_1)
	v_rcp_f64_e32 v[14:15], v[12:13]
	s_waitcnt_depctr 0xfff
	v_fma_f64 v[16:17], -v[12:13], v[14:15], 1.0
	v_fma_f64 v[14:15], v[14:15], v[16:17], v[14:15]
	s_delay_alu instid0(VALU_DEP_1) | instskip(NEXT) | instid1(VALU_DEP_1)
	v_fma_f64 v[16:17], -v[12:13], v[14:15], 1.0
	v_fma_f64 v[14:15], v[14:15], v[16:17], v[14:15]
	v_div_scale_f64 v[16:17], vcc_lo, v[8:9], v[10:11], v[8:9]
	s_delay_alu instid0(VALU_DEP_1) | instskip(NEXT) | instid1(VALU_DEP_1)
	v_mul_f64 v[20:21], v[16:17], v[14:15]
	v_fma_f64 v[12:13], -v[12:13], v[20:21], v[16:17]
	s_delay_alu instid0(VALU_DEP_1) | instskip(NEXT) | instid1(VALU_DEP_1)
	v_div_fmas_f64 v[12:13], v[12:13], v[14:15], v[20:21]
	v_div_fixup_f64 v[8:9], v[12:13], v[10:11], v[8:9]
	v_mov_b32_e32 v12, 0
	v_mov_b32_e32 v13, 0
	s_delay_alu instid0(VALU_DEP_3) | instskip(SKIP_1) | instid1(VALU_DEP_1)
	v_add_f64 v[8:9], v[6:7], -v[8:9]
	s_waitcnt vmcnt(0)
	v_add_f64 v[14:15], v[18:19], -v[8:9]
	s_delay_alu instid0(VALU_DEP_1)
	v_mul_f64 v[16:17], v[14:15], v[14:15]
	s_cbranch_scc1 .LBB9_122
; %bb.107:                              ;   in Loop: Header=BB9_97 Depth=2
	s_add_u32 s38, s10, s38
	s_addc_u32 s39, s11, s39
	s_clause 0x1
	global_load_b64 v[10:11], v2, s[38:39]
	global_load_b64 v[20:21], v2, s[36:37] offset:8
	s_waitcnt vmcnt(1)
	v_add_f64 v[18:19], v[16:17], v[10:11]
	s_delay_alu instid0(VALU_DEP_1) | instskip(SKIP_2) | instid1(VALU_DEP_3)
	v_div_scale_f64 v[12:13], null, v[18:19], v[18:19], v[16:17]
	v_div_scale_f64 v[22:23], null, v[18:19], v[18:19], v[10:11]
	v_div_scale_f64 v[32:33], vcc_lo, v[16:17], v[18:19], v[16:17]
	v_rcp_f64_e32 v[24:25], v[12:13]
	s_delay_alu instid0(VALU_DEP_2) | instskip(SKIP_3) | instid1(VALU_DEP_2)
	v_rcp_f64_e32 v[26:27], v[22:23]
	s_waitcnt_depctr 0xfff
	v_fma_f64 v[28:29], -v[12:13], v[24:25], 1.0
	v_fma_f64 v[30:31], -v[22:23], v[26:27], 1.0
	v_fma_f64 v[24:25], v[24:25], v[28:29], v[24:25]
	s_delay_alu instid0(VALU_DEP_2) | instskip(NEXT) | instid1(VALU_DEP_2)
	v_fma_f64 v[26:27], v[26:27], v[30:31], v[26:27]
	v_fma_f64 v[28:29], -v[12:13], v[24:25], 1.0
	s_delay_alu instid0(VALU_DEP_2) | instskip(NEXT) | instid1(VALU_DEP_2)
	v_fma_f64 v[30:31], -v[22:23], v[26:27], 1.0
	v_fma_f64 v[24:25], v[24:25], v[28:29], v[24:25]
	v_div_scale_f64 v[28:29], s3, v[10:11], v[18:19], v[10:11]
	s_delay_alu instid0(VALU_DEP_3) | instskip(NEXT) | instid1(VALU_DEP_3)
	v_fma_f64 v[26:27], v[26:27], v[30:31], v[26:27]
	v_mul_f64 v[30:31], v[32:33], v[24:25]
	s_delay_alu instid0(VALU_DEP_2) | instskip(NEXT) | instid1(VALU_DEP_2)
	v_mul_f64 v[34:35], v[28:29], v[26:27]
	v_fma_f64 v[12:13], -v[12:13], v[30:31], v[32:33]
	s_delay_alu instid0(VALU_DEP_2) | instskip(NEXT) | instid1(VALU_DEP_2)
	v_fma_f64 v[22:23], -v[22:23], v[34:35], v[28:29]
	v_div_fmas_f64 v[24:25], v[12:13], v[24:25], v[30:31]
	s_mov_b32 vcc_lo, s3
	s_delay_alu instid0(VALU_DEP_2) | instskip(SKIP_2) | instid1(VALU_DEP_3)
	v_div_fmas_f64 v[12:13], v[22:23], v[26:27], v[34:35]
	s_waitcnt vmcnt(0)
	v_add_f64 v[22:23], v[20:21], -v[8:9]
	v_div_fixup_f64 v[16:17], v[24:25], v[18:19], v[16:17]
	s_delay_alu instid0(VALU_DEP_3) | instskip(NEXT) | instid1(VALU_DEP_2)
	v_div_fixup_f64 v[12:13], v[12:13], v[18:19], v[10:11]
	v_cmp_eq_f64_e32 vcc_lo, 0, v[16:17]
	s_delay_alu instid0(VALU_DEP_2) | instskip(SKIP_1) | instid1(VALU_DEP_1)
	v_mul_f64 v[18:19], v[14:15], v[12:13]
	s_and_b32 vcc_lo, exec_lo, vcc_lo
	v_fma_f64 v[18:19], v[16:17], v[22:23], -v[18:19]
	s_delay_alu instid0(VALU_DEP_1) | instskip(NEXT) | instid1(VALU_DEP_1)
	v_add_f64 v[20:21], v[20:21], -v[18:19]
	v_add_f64 v[14:15], v[14:15], v[20:21]
	global_store_b64 v2, v[14:15], s[36:37]
	s_cbranch_vccnz .LBB9_109
; %bb.108:                              ;   in Loop: Header=BB9_97 Depth=2
	v_mul_f64 v[10:11], v[18:19], v[18:19]
	s_delay_alu instid0(VALU_DEP_1) | instskip(NEXT) | instid1(VALU_DEP_1)
	v_div_scale_f64 v[14:15], null, v[16:17], v[16:17], v[10:11]
	v_rcp_f64_e32 v[20:21], v[14:15]
	s_waitcnt_depctr 0xfff
	v_fma_f64 v[22:23], -v[14:15], v[20:21], 1.0
	s_delay_alu instid0(VALU_DEP_1) | instskip(NEXT) | instid1(VALU_DEP_1)
	v_fma_f64 v[20:21], v[20:21], v[22:23], v[20:21]
	v_fma_f64 v[22:23], -v[14:15], v[20:21], 1.0
	s_delay_alu instid0(VALU_DEP_1) | instskip(SKIP_1) | instid1(VALU_DEP_1)
	v_fma_f64 v[20:21], v[20:21], v[22:23], v[20:21]
	v_div_scale_f64 v[22:23], vcc_lo, v[10:11], v[16:17], v[10:11]
	v_mul_f64 v[24:25], v[22:23], v[20:21]
	s_delay_alu instid0(VALU_DEP_1) | instskip(NEXT) | instid1(VALU_DEP_1)
	v_fma_f64 v[14:15], -v[14:15], v[24:25], v[22:23]
	v_div_fmas_f64 v[14:15], v[14:15], v[20:21], v[24:25]
	s_delay_alu instid0(VALU_DEP_1)
	v_div_fixup_f64 v[10:11], v[14:15], v[16:17], v[10:11]
.LBB9_109:                              ;   in Loop: Header=BB9_97 Depth=2
	s_add_i32 s36, s30, 1
	s_delay_alu instid0(SALU_CYCLE_1)
	s_cmp_ge_i32 s36, s28
	s_cbranch_scc1 .LBB9_120
; %bb.110:                              ;   in Loop: Header=BB9_97 Depth=2
	s_ashr_i32 s37, s36, 31
	s_mov_b32 s31, 1
	s_lshl_b64 s[38:39], s[36:37], 3
	s_delay_alu instid0(SALU_CYCLE_1)
	s_add_u32 s36, s56, s38
	s_addc_u32 s37, s57, s39
	s_add_u32 s38, s62, s38
	s_addc_u32 s39, s63, s39
	global_load_b64 v[20:21], v2, s[36:37]
	s_cmp_eq_u32 s31, 0
	s_waitcnt vmcnt(0)
	v_add_f64 v[14:15], v[10:11], v[20:21]
	s_cbranch_scc1 .LBB9_112
.LBB9_111:                              ;   in Loop: Header=BB9_97 Depth=2
	s_delay_alu instid0(VALU_DEP_1)
	v_mul_f64 v[12:13], v[12:13], v[14:15]
	global_store_b64 v2, v[12:13], s[36:37] offset:-8
.LBB9_112:                              ;   Parent Loop BB9_4 Depth=1
                                        ;     Parent Loop BB9_97 Depth=2
                                        ; =>    This Inner Loop Header: Depth=3
	s_delay_alu instid0(VALU_DEP_1)
	v_div_scale_f64 v[12:13], null, v[14:15], v[14:15], v[10:11]
	v_div_scale_f64 v[22:23], null, v[14:15], v[14:15], v[20:21]
	global_load_b64 v[28:29], v2, s[38:39]
	v_div_scale_f64 v[34:35], vcc_lo, v[10:11], v[14:15], v[10:11]
	v_rcp_f64_e32 v[24:25], v[12:13]
	v_rcp_f64_e32 v[26:27], v[22:23]
	s_waitcnt_depctr 0xfff
	v_fma_f64 v[30:31], -v[12:13], v[24:25], 1.0
	v_fma_f64 v[32:33], -v[22:23], v[26:27], 1.0
	s_delay_alu instid0(VALU_DEP_2) | instskip(NEXT) | instid1(VALU_DEP_2)
	v_fma_f64 v[24:25], v[24:25], v[30:31], v[24:25]
	v_fma_f64 v[26:27], v[26:27], v[32:33], v[26:27]
	s_delay_alu instid0(VALU_DEP_2) | instskip(NEXT) | instid1(VALU_DEP_2)
	v_fma_f64 v[30:31], -v[12:13], v[24:25], 1.0
	v_fma_f64 v[32:33], -v[22:23], v[26:27], 1.0
	s_delay_alu instid0(VALU_DEP_2) | instskip(SKIP_1) | instid1(VALU_DEP_3)
	v_fma_f64 v[24:25], v[24:25], v[30:31], v[24:25]
	v_div_scale_f64 v[30:31], s3, v[20:21], v[14:15], v[20:21]
	v_fma_f64 v[26:27], v[26:27], v[32:33], v[26:27]
	s_delay_alu instid0(VALU_DEP_3) | instskip(NEXT) | instid1(VALU_DEP_2)
	v_mul_f64 v[32:33], v[34:35], v[24:25]
	v_mul_f64 v[36:37], v[30:31], v[26:27]
	s_delay_alu instid0(VALU_DEP_2) | instskip(NEXT) | instid1(VALU_DEP_2)
	v_fma_f64 v[12:13], -v[12:13], v[32:33], v[34:35]
	v_fma_f64 v[22:23], -v[22:23], v[36:37], v[30:31]
	s_delay_alu instid0(VALU_DEP_2) | instskip(SKIP_1) | instid1(VALU_DEP_2)
	v_div_fmas_f64 v[24:25], v[12:13], v[24:25], v[32:33]
	s_mov_b32 vcc_lo, s3
	v_div_fmas_f64 v[12:13], v[22:23], v[26:27], v[36:37]
	s_waitcnt vmcnt(0)
	v_add_f64 v[26:27], v[28:29], -v[8:9]
	s_delay_alu instid0(VALU_DEP_3) | instskip(NEXT) | instid1(VALU_DEP_3)
	v_div_fixup_f64 v[22:23], v[24:25], v[14:15], v[10:11]
	v_div_fixup_f64 v[12:13], v[12:13], v[14:15], v[20:21]
	s_delay_alu instid0(VALU_DEP_2) | instskip(NEXT) | instid1(VALU_DEP_2)
	v_cmp_eq_f64_e32 vcc_lo, 0, v[22:23]
	v_mul_f64 v[10:11], v[18:19], v[12:13]
	s_and_b32 vcc_lo, exec_lo, vcc_lo
	s_delay_alu instid0(VALU_DEP_1) | instskip(NEXT) | instid1(VALU_DEP_1)
	v_fma_f64 v[14:15], v[22:23], v[26:27], -v[10:11]
	v_add_f64 v[10:11], v[28:29], -v[14:15]
	s_delay_alu instid0(VALU_DEP_1)
	v_add_f64 v[10:11], v[18:19], v[10:11]
	global_store_b64 v2, v[10:11], s[38:39] offset:-8
	s_cbranch_vccz .LBB9_117
; %bb.113:                              ;   in Loop: Header=BB9_112 Depth=3
	v_mul_f64 v[10:11], v[16:17], v[20:21]
	s_cbranch_execnz .LBB9_115
.LBB9_114:                              ;   in Loop: Header=BB9_112 Depth=3
	v_mul_f64 v[10:11], v[14:15], v[14:15]
	s_delay_alu instid0(VALU_DEP_1) | instskip(NEXT) | instid1(VALU_DEP_1)
	v_div_scale_f64 v[16:17], null, v[22:23], v[22:23], v[10:11]
	v_rcp_f64_e32 v[18:19], v[16:17]
	s_waitcnt_depctr 0xfff
	v_fma_f64 v[20:21], -v[16:17], v[18:19], 1.0
	s_delay_alu instid0(VALU_DEP_1) | instskip(NEXT) | instid1(VALU_DEP_1)
	v_fma_f64 v[18:19], v[18:19], v[20:21], v[18:19]
	v_fma_f64 v[20:21], -v[16:17], v[18:19], 1.0
	s_delay_alu instid0(VALU_DEP_1) | instskip(SKIP_1) | instid1(VALU_DEP_1)
	v_fma_f64 v[18:19], v[18:19], v[20:21], v[18:19]
	v_div_scale_f64 v[20:21], vcc_lo, v[10:11], v[22:23], v[10:11]
	v_mul_f64 v[24:25], v[20:21], v[18:19]
	s_delay_alu instid0(VALU_DEP_1) | instskip(NEXT) | instid1(VALU_DEP_1)
	v_fma_f64 v[16:17], -v[16:17], v[24:25], v[20:21]
	v_div_fmas_f64 v[16:17], v[16:17], v[18:19], v[24:25]
	s_delay_alu instid0(VALU_DEP_1)
	v_div_fixup_f64 v[10:11], v[16:17], v[22:23], v[10:11]
.LBB9_115:                              ;   in Loop: Header=BB9_112 Depth=3
	s_add_i32 s31, s31, 1
	s_delay_alu instid0(SALU_CYCLE_1)
	s_add_i32 s3, s30, s31
	s_add_u32 s36, s36, 8
	s_addc_u32 s37, s37, 0
	s_add_u32 s38, s38, 8
	s_addc_u32 s39, s39, 0
	s_cmp_ge_i32 s3, s28
	s_cbranch_scc1 .LBB9_121
; %bb.116:                              ;   in Loop: Header=BB9_112 Depth=3
	v_dual_mov_b32 v16, v22 :: v_dual_mov_b32 v17, v23
	v_dual_mov_b32 v19, v15 :: v_dual_mov_b32 v18, v14
	global_load_b64 v[20:21], v2, s[36:37]
	s_cmp_eq_u32 s31, 0
	s_waitcnt vmcnt(0)
	v_add_f64 v[14:15], v[10:11], v[20:21]
	s_cbranch_scc0 .LBB9_111
	s_branch .LBB9_112
.LBB9_117:                              ;   in Loop: Header=BB9_112 Depth=3
                                        ; implicit-def: $vgpr10_vgpr11
	s_branch .LBB9_114
.LBB9_118:                              ;   in Loop: Header=BB9_97 Depth=2
                                        ; implicit-def: $sgpr31
	s_cbranch_execz .LBB9_96
	s_branch .LBB9_142
.LBB9_119:                              ;   in Loop: Header=BB9_97 Depth=2
	s_mov_b32 s36, 0
                                        ; implicit-def: $sgpr31
                                        ; implicit-def: $sgpr3
                                        ; implicit-def: $sgpr37
	s_cbranch_execnz .LBB9_124
	s_branch .LBB9_141
.LBB9_120:                              ;   in Loop: Header=BB9_97 Depth=2
	v_dual_mov_b32 v14, v18 :: v_dual_mov_b32 v15, v19
.LBB9_121:                              ;   in Loop: Header=BB9_97 Depth=2
	s_delay_alu instid0(VALU_DEP_1)
	v_dual_mov_b32 v17, v11 :: v_dual_mov_b32 v16, v10
.LBB9_122:                              ;   in Loop: Header=BB9_97 Depth=2
	s_delay_alu instid0(VALU_DEP_1) | instskip(NEXT) | instid1(VALU_DEP_3)
	v_mul_f64 v[10:11], v[16:17], v[12:13]
	v_add_f64 v[8:9], v[8:9], v[14:15]
	s_add_i32 s37, s67, 1
	s_mov_b32 s36, -1
	s_clause 0x1
	global_store_b64 v2, v[10:11], s[34:35]
	global_store_b64 v2, v[8:9], s[4:5]
.LBB9_123:                              ;   in Loop: Header=BB9_97 Depth=2
	s_mov_b32 s31, s50
	s_mov_b32 s3, s28
	s_and_b32 vcc_lo, exec_lo, s40
	s_cbranch_vccz .LBB9_141
.LBB9_124:                              ;   in Loop: Header=BB9_97 Depth=2
	s_ashr_i32 s31, s30, 31
	s_delay_alu instid0(SALU_CYCLE_1) | instskip(NEXT) | instid1(SALU_CYCLE_1)
	s_lshl_b64 s[34:35], s[30:31], 3
	s_add_u32 s30, s10, s34
	s_addc_u32 s31, s11, s35
	global_load_b64 v[8:9], v2, s[30:31]
	s_waitcnt vmcnt(0)
	v_cmp_gt_f64_e32 vcc_lo, 0x10000000, v[8:9]
	v_cndmask_b32_e64 v3, 0, 1, vcc_lo
	s_and_b32 s3, vcc_lo, exec_lo
	s_cselect_b32 s3, 0xffffff80, 0
	s_add_u32 s34, s48, s34
	s_addc_u32 s35, s49, s35
	v_lshlrev_b32_e32 v3, 8, v3
	global_load_b64 v[10:11], v2, s[34:35]
	v_ldexp_f64 v[8:9], v[8:9], v3
	s_delay_alu instid0(VALU_DEP_1) | instskip(SKIP_4) | instid1(VALU_DEP_1)
	v_rsq_f64_e32 v[12:13], v[8:9]
	v_cmp_class_f64_e64 vcc_lo, v[8:9], 0x260
	s_waitcnt_depctr 0xfff
	v_mul_f64 v[14:15], v[8:9], v[12:13]
	v_mul_f64 v[12:13], v[12:13], 0.5
	v_fma_f64 v[16:17], -v[12:13], v[14:15], 0.5
	s_delay_alu instid0(VALU_DEP_1) | instskip(SKIP_1) | instid1(VALU_DEP_2)
	v_fma_f64 v[14:15], v[14:15], v[16:17], v[14:15]
	v_fma_f64 v[12:13], v[12:13], v[16:17], v[12:13]
	v_fma_f64 v[16:17], -v[14:15], v[14:15], v[8:9]
	s_delay_alu instid0(VALU_DEP_1) | instskip(NEXT) | instid1(VALU_DEP_1)
	v_fma_f64 v[14:15], v[16:17], v[12:13], v[14:15]
	v_fma_f64 v[16:17], -v[14:15], v[14:15], v[8:9]
	s_delay_alu instid0(VALU_DEP_1) | instskip(SKIP_2) | instid1(VALU_DEP_2)
	v_fma_f64 v[12:13], v[16:17], v[12:13], v[14:15]
	s_waitcnt vmcnt(0)
	v_add_f64 v[14:15], v[6:7], -v[10:11]
	v_ldexp_f64 v[12:13], v[12:13], s3
	s_delay_alu instid0(VALU_DEP_1) | instskip(NEXT) | instid1(VALU_DEP_1)
	v_dual_cndmask_b32 v8, v12, v8 :: v_dual_cndmask_b32 v9, v13, v9
	v_add_f64 v[16:17], v[8:9], v[8:9]
	s_delay_alu instid0(VALU_DEP_1) | instskip(NEXT) | instid1(VALU_DEP_1)
	v_cmp_ngt_f64_e64 s3, |v[14:15]|, |v[16:17]|
	s_and_b32 vcc_lo, exec_lo, s3
	s_cbranch_vccz .LBB9_127
; %bb.125:                              ;   in Loop: Header=BB9_97 Depth=2
	v_cmp_nlt_f64_e64 s3, |v[14:15]|, |v[16:17]|
	s_delay_alu instid0(VALU_DEP_1)
	s_and_b32 vcc_lo, exec_lo, s3
	s_cbranch_vccz .LBB9_128
; %bb.126:                              ;   in Loop: Header=BB9_97 Depth=2
	v_mul_f64 v[12:13], |v[16:17]|, s[12:13]
	s_cbranch_execz .LBB9_129
	s_branch .LBB9_130
.LBB9_127:                              ;   in Loop: Header=BB9_97 Depth=2
                                        ; implicit-def: $vgpr12_vgpr13
	s_branch .LBB9_131
.LBB9_128:                              ;   in Loop: Header=BB9_97 Depth=2
                                        ; implicit-def: $vgpr12_vgpr13
.LBB9_129:                              ;   in Loop: Header=BB9_97 Depth=2
	v_dual_mov_b32 v12, v14 :: v_dual_and_b32 v13, 0x7fffffff, v15
	v_dual_mov_b32 v18, v16 :: v_dual_and_b32 v19, 0x7fffffff, v17
	s_delay_alu instid0(VALU_DEP_1) | instskip(SKIP_1) | instid1(VALU_DEP_2)
	v_div_scale_f64 v[20:21], null, v[18:19], v[18:19], v[12:13]
	v_div_scale_f64 v[12:13], vcc_lo, v[12:13], v[18:19], v[12:13]
	v_rcp_f64_e32 v[22:23], v[20:21]
	s_waitcnt_depctr 0xfff
	v_fma_f64 v[24:25], -v[20:21], v[22:23], 1.0
	s_delay_alu instid0(VALU_DEP_1) | instskip(NEXT) | instid1(VALU_DEP_1)
	v_fma_f64 v[22:23], v[22:23], v[24:25], v[22:23]
	v_fma_f64 v[24:25], -v[20:21], v[22:23], 1.0
	s_delay_alu instid0(VALU_DEP_1) | instskip(NEXT) | instid1(VALU_DEP_1)
	v_fma_f64 v[18:19], v[22:23], v[24:25], v[22:23]
	v_mul_f64 v[22:23], v[12:13], v[18:19]
	s_delay_alu instid0(VALU_DEP_1) | instskip(NEXT) | instid1(VALU_DEP_1)
	v_fma_f64 v[12:13], -v[20:21], v[22:23], v[12:13]
	v_div_fmas_f64 v[12:13], v[12:13], v[18:19], v[22:23]
	s_delay_alu instid0(VALU_DEP_1) | instskip(NEXT) | instid1(VALU_DEP_1)
	v_div_fixup_f64 v[12:13], v[12:13], |v[16:17]|, |v[14:15]|
	v_fma_f64 v[12:13], v[12:13], v[12:13], 1.0
	s_delay_alu instid0(VALU_DEP_1) | instskip(SKIP_3) | instid1(VALU_DEP_1)
	v_cmp_gt_f64_e32 vcc_lo, 0x10000000, v[12:13]
	v_cndmask_b32_e64 v3, 0, 1, vcc_lo
	s_and_b32 s3, vcc_lo, exec_lo
	s_cselect_b32 s3, 0xffffff80, 0
	v_lshlrev_b32_e32 v3, 8, v3
	s_delay_alu instid0(VALU_DEP_1) | instskip(NEXT) | instid1(VALU_DEP_1)
	v_ldexp_f64 v[12:13], v[12:13], v3
	v_rsq_f64_e32 v[18:19], v[12:13]
	v_cmp_class_f64_e64 vcc_lo, v[12:13], 0x260
	s_waitcnt_depctr 0xfff
	v_mul_f64 v[20:21], v[12:13], v[18:19]
	v_mul_f64 v[18:19], v[18:19], 0.5
	s_delay_alu instid0(VALU_DEP_1) | instskip(NEXT) | instid1(VALU_DEP_1)
	v_fma_f64 v[22:23], -v[18:19], v[20:21], 0.5
	v_fma_f64 v[20:21], v[20:21], v[22:23], v[20:21]
	v_fma_f64 v[18:19], v[18:19], v[22:23], v[18:19]
	s_delay_alu instid0(VALU_DEP_2) | instskip(NEXT) | instid1(VALU_DEP_1)
	v_fma_f64 v[22:23], -v[20:21], v[20:21], v[12:13]
	v_fma_f64 v[20:21], v[22:23], v[18:19], v[20:21]
	s_delay_alu instid0(VALU_DEP_1) | instskip(NEXT) | instid1(VALU_DEP_1)
	v_fma_f64 v[22:23], -v[20:21], v[20:21], v[12:13]
	v_fma_f64 v[18:19], v[22:23], v[18:19], v[20:21]
	s_delay_alu instid0(VALU_DEP_1) | instskip(NEXT) | instid1(VALU_DEP_1)
	v_ldexp_f64 v[18:19], v[18:19], s3
	v_dual_cndmask_b32 v12, v18, v12 :: v_dual_cndmask_b32 v13, v19, v13
	s_delay_alu instid0(VALU_DEP_1)
	v_mul_f64 v[12:13], |v[16:17]|, v[12:13]
.LBB9_130:                              ;   in Loop: Header=BB9_97 Depth=2
	s_cbranch_execnz .LBB9_132
.LBB9_131:                              ;   in Loop: Header=BB9_97 Depth=2
	v_dual_mov_b32 v12, v16 :: v_dual_and_b32 v13, 0x7fffffff, v17
	v_dual_mov_b32 v18, v14 :: v_dual_and_b32 v19, 0x7fffffff, v15
	s_delay_alu instid0(VALU_DEP_1) | instskip(SKIP_1) | instid1(VALU_DEP_2)
	v_div_scale_f64 v[20:21], null, v[18:19], v[18:19], v[12:13]
	v_div_scale_f64 v[12:13], vcc_lo, v[12:13], v[18:19], v[12:13]
	v_rcp_f64_e32 v[22:23], v[20:21]
	s_waitcnt_depctr 0xfff
	v_fma_f64 v[24:25], -v[20:21], v[22:23], 1.0
	s_delay_alu instid0(VALU_DEP_1) | instskip(NEXT) | instid1(VALU_DEP_1)
	v_fma_f64 v[22:23], v[22:23], v[24:25], v[22:23]
	v_fma_f64 v[24:25], -v[20:21], v[22:23], 1.0
	s_delay_alu instid0(VALU_DEP_1) | instskip(NEXT) | instid1(VALU_DEP_1)
	v_fma_f64 v[18:19], v[22:23], v[24:25], v[22:23]
	v_mul_f64 v[22:23], v[12:13], v[18:19]
	s_delay_alu instid0(VALU_DEP_1) | instskip(NEXT) | instid1(VALU_DEP_1)
	v_fma_f64 v[12:13], -v[20:21], v[22:23], v[12:13]
	v_div_fmas_f64 v[12:13], v[12:13], v[18:19], v[22:23]
	s_delay_alu instid0(VALU_DEP_1) | instskip(NEXT) | instid1(VALU_DEP_1)
	v_div_fixup_f64 v[12:13], v[12:13], |v[14:15]|, |v[16:17]|
	v_fma_f64 v[12:13], v[12:13], v[12:13], 1.0
	s_delay_alu instid0(VALU_DEP_1) | instskip(SKIP_3) | instid1(VALU_DEP_1)
	v_cmp_gt_f64_e32 vcc_lo, 0x10000000, v[12:13]
	v_cndmask_b32_e64 v3, 0, 1, vcc_lo
	s_and_b32 s3, vcc_lo, exec_lo
	s_cselect_b32 s3, 0xffffff80, 0
	v_lshlrev_b32_e32 v3, 8, v3
	s_delay_alu instid0(VALU_DEP_1) | instskip(NEXT) | instid1(VALU_DEP_1)
	v_ldexp_f64 v[12:13], v[12:13], v3
	v_rsq_f64_e32 v[16:17], v[12:13]
	v_cmp_class_f64_e64 vcc_lo, v[12:13], 0x260
	s_waitcnt_depctr 0xfff
	v_mul_f64 v[18:19], v[12:13], v[16:17]
	v_mul_f64 v[16:17], v[16:17], 0.5
	s_delay_alu instid0(VALU_DEP_1) | instskip(NEXT) | instid1(VALU_DEP_1)
	v_fma_f64 v[20:21], -v[16:17], v[18:19], 0.5
	v_fma_f64 v[18:19], v[18:19], v[20:21], v[18:19]
	v_fma_f64 v[16:17], v[16:17], v[20:21], v[16:17]
	s_delay_alu instid0(VALU_DEP_2) | instskip(NEXT) | instid1(VALU_DEP_1)
	v_fma_f64 v[20:21], -v[18:19], v[18:19], v[12:13]
	v_fma_f64 v[18:19], v[20:21], v[16:17], v[18:19]
	s_delay_alu instid0(VALU_DEP_1) | instskip(NEXT) | instid1(VALU_DEP_1)
	v_fma_f64 v[20:21], -v[18:19], v[18:19], v[12:13]
	v_fma_f64 v[16:17], v[20:21], v[16:17], v[18:19]
	s_delay_alu instid0(VALU_DEP_1) | instskip(NEXT) | instid1(VALU_DEP_1)
	v_ldexp_f64 v[16:17], v[16:17], s3
	v_dual_cndmask_b32 v12, v16, v12 :: v_dual_cndmask_b32 v13, v17, v13
	s_delay_alu instid0(VALU_DEP_1)
	v_mul_f64 v[12:13], |v[14:15]|, v[12:13]
.LBB9_132:                              ;   in Loop: Header=BB9_97 Depth=2
	v_add_f64 v[16:17], v[6:7], v[10:11]
	v_cmp_gt_f64_e64 vcc_lo, |v[6:7]|, |v[10:11]|
	s_delay_alu instid0(VALU_DEP_2) | instskip(SKIP_2) | instid1(VALU_DEP_3)
	v_cmp_ngt_f64_e64 s3, 0, v[16:17]
	v_dual_cndmask_b32 v15, v7, v11 :: v_dual_cndmask_b32 v14, v6, v10
	v_dual_cndmask_b32 v7, v11, v7 :: v_dual_cndmask_b32 v6, v10, v6
	s_and_b32 vcc_lo, exec_lo, s3
	s_cbranch_vccz .LBB9_135
; %bb.133:                              ;   in Loop: Header=BB9_97 Depth=2
	v_cmp_nlt_f64_e32 vcc_lo, 0, v[16:17]
	s_cbranch_vccz .LBB9_136
; %bb.134:                              ;   in Loop: Header=BB9_97 Depth=2
	v_mul_f64 v[10:11], v[12:13], 0.5
	v_mul_f64 v[18:19], v[12:13], -0.5
	s_cbranch_execz .LBB9_137
	s_branch .LBB9_138
.LBB9_135:                              ;   in Loop: Header=BB9_97 Depth=2
                                        ; implicit-def: $vgpr18_vgpr19
                                        ; implicit-def: $vgpr10_vgpr11
	s_branch .LBB9_139
.LBB9_136:                              ;   in Loop: Header=BB9_97 Depth=2
                                        ; implicit-def: $vgpr18_vgpr19
                                        ; implicit-def: $vgpr10_vgpr11
.LBB9_137:                              ;   in Loop: Header=BB9_97 Depth=2
	v_add_f64 v[10:11], v[16:17], v[12:13]
	s_delay_alu instid0(VALU_DEP_1) | instskip(NEXT) | instid1(VALU_DEP_1)
	v_mul_f64 v[10:11], v[10:11], 0.5
	v_div_scale_f64 v[18:19], null, v[10:11], v[10:11], v[6:7]
	v_div_scale_f64 v[20:21], null, v[10:11], v[10:11], v[8:9]
	v_div_scale_f64 v[30:31], vcc_lo, v[6:7], v[10:11], v[6:7]
	s_delay_alu instid0(VALU_DEP_3) | instskip(NEXT) | instid1(VALU_DEP_2)
	v_rcp_f64_e32 v[22:23], v[18:19]
	v_rcp_f64_e32 v[24:25], v[20:21]
	s_waitcnt_depctr 0xfff
	v_fma_f64 v[26:27], -v[18:19], v[22:23], 1.0
	v_fma_f64 v[28:29], -v[20:21], v[24:25], 1.0
	s_delay_alu instid0(VALU_DEP_2) | instskip(NEXT) | instid1(VALU_DEP_2)
	v_fma_f64 v[22:23], v[22:23], v[26:27], v[22:23]
	v_fma_f64 v[24:25], v[24:25], v[28:29], v[24:25]
	s_delay_alu instid0(VALU_DEP_2) | instskip(NEXT) | instid1(VALU_DEP_2)
	v_fma_f64 v[26:27], -v[18:19], v[22:23], 1.0
	v_fma_f64 v[28:29], -v[20:21], v[24:25], 1.0
	s_delay_alu instid0(VALU_DEP_2) | instskip(SKIP_1) | instid1(VALU_DEP_3)
	v_fma_f64 v[22:23], v[22:23], v[26:27], v[22:23]
	v_div_scale_f64 v[26:27], s3, v[8:9], v[10:11], v[8:9]
	v_fma_f64 v[24:25], v[24:25], v[28:29], v[24:25]
	s_delay_alu instid0(VALU_DEP_3) | instskip(NEXT) | instid1(VALU_DEP_2)
	v_mul_f64 v[28:29], v[30:31], v[22:23]
	v_mul_f64 v[32:33], v[26:27], v[24:25]
	s_delay_alu instid0(VALU_DEP_2) | instskip(NEXT) | instid1(VALU_DEP_2)
	v_fma_f64 v[18:19], -v[18:19], v[28:29], v[30:31]
	v_fma_f64 v[20:21], -v[20:21], v[32:33], v[26:27]
	s_delay_alu instid0(VALU_DEP_2) | instskip(SKIP_1) | instid1(VALU_DEP_2)
	v_div_fmas_f64 v[18:19], v[18:19], v[22:23], v[28:29]
	s_mov_b32 vcc_lo, s3
	v_div_fmas_f64 v[20:21], v[20:21], v[24:25], v[32:33]
	s_delay_alu instid0(VALU_DEP_2) | instskip(NEXT) | instid1(VALU_DEP_2)
	v_div_fixup_f64 v[18:19], v[18:19], v[10:11], v[6:7]
	v_div_fixup_f64 v[20:21], v[20:21], v[10:11], v[8:9]
	s_delay_alu instid0(VALU_DEP_1) | instskip(NEXT) | instid1(VALU_DEP_1)
	v_mul_f64 v[20:21], v[8:9], v[20:21]
	v_fma_f64 v[18:19], v[14:15], v[18:19], -v[20:21]
.LBB9_138:                              ;   in Loop: Header=BB9_97 Depth=2
	s_cbranch_execnz .LBB9_140
.LBB9_139:                              ;   in Loop: Header=BB9_97 Depth=2
	v_add_f64 v[10:11], v[16:17], -v[12:13]
	s_delay_alu instid0(VALU_DEP_1) | instskip(NEXT) | instid1(VALU_DEP_1)
	v_mul_f64 v[10:11], v[10:11], 0.5
	v_div_scale_f64 v[12:13], null, v[10:11], v[10:11], v[6:7]
	v_div_scale_f64 v[16:17], null, v[10:11], v[10:11], v[8:9]
	v_div_scale_f64 v[26:27], vcc_lo, v[6:7], v[10:11], v[6:7]
	s_delay_alu instid0(VALU_DEP_3) | instskip(NEXT) | instid1(VALU_DEP_2)
	v_rcp_f64_e32 v[18:19], v[12:13]
	v_rcp_f64_e32 v[20:21], v[16:17]
	s_waitcnt_depctr 0xfff
	v_fma_f64 v[22:23], -v[12:13], v[18:19], 1.0
	v_fma_f64 v[24:25], -v[16:17], v[20:21], 1.0
	s_delay_alu instid0(VALU_DEP_2) | instskip(NEXT) | instid1(VALU_DEP_2)
	v_fma_f64 v[18:19], v[18:19], v[22:23], v[18:19]
	v_fma_f64 v[20:21], v[20:21], v[24:25], v[20:21]
	s_delay_alu instid0(VALU_DEP_2) | instskip(NEXT) | instid1(VALU_DEP_2)
	v_fma_f64 v[22:23], -v[12:13], v[18:19], 1.0
	v_fma_f64 v[24:25], -v[16:17], v[20:21], 1.0
	s_delay_alu instid0(VALU_DEP_2) | instskip(SKIP_1) | instid1(VALU_DEP_3)
	v_fma_f64 v[18:19], v[18:19], v[22:23], v[18:19]
	v_div_scale_f64 v[22:23], s3, v[8:9], v[10:11], v[8:9]
	v_fma_f64 v[20:21], v[20:21], v[24:25], v[20:21]
	s_delay_alu instid0(VALU_DEP_3) | instskip(NEXT) | instid1(VALU_DEP_2)
	v_mul_f64 v[24:25], v[26:27], v[18:19]
	v_mul_f64 v[28:29], v[22:23], v[20:21]
	s_delay_alu instid0(VALU_DEP_2) | instskip(NEXT) | instid1(VALU_DEP_2)
	v_fma_f64 v[12:13], -v[12:13], v[24:25], v[26:27]
	v_fma_f64 v[16:17], -v[16:17], v[28:29], v[22:23]
	s_delay_alu instid0(VALU_DEP_2) | instskip(SKIP_1) | instid1(VALU_DEP_2)
	v_div_fmas_f64 v[12:13], v[12:13], v[18:19], v[24:25]
	s_mov_b32 vcc_lo, s3
	v_div_fmas_f64 v[16:17], v[16:17], v[20:21], v[28:29]
	s_delay_alu instid0(VALU_DEP_2) | instskip(NEXT) | instid1(VALU_DEP_2)
	v_div_fixup_f64 v[6:7], v[12:13], v[10:11], v[6:7]
	v_div_fixup_f64 v[16:17], v[16:17], v[10:11], v[8:9]
	s_delay_alu instid0(VALU_DEP_1) | instskip(NEXT) | instid1(VALU_DEP_1)
	v_mul_f64 v[8:9], v[8:9], v[16:17]
	v_fma_f64 v[18:19], v[14:15], v[6:7], -v[8:9]
.LBB9_140:                              ;   in Loop: Header=BB9_97 Depth=2
	v_mov_b32_e32 v3, v2
	s_add_i32 s3, s28, -2
	s_mov_b32 s36, -1
	s_mov_b32 s37, s67
	s_clause 0x2
	global_store_b64 v2, v[10:11], s[4:5]
	global_store_b64 v2, v[18:19], s[34:35]
	;; [unrolled: 1-line block ×3, first 2 shown]
                                        ; implicit-def: $sgpr31
.LBB9_141:                              ;   in Loop: Header=BB9_97 Depth=2
	s_mov_b32 s67, s37
	s_and_b32 vcc_lo, exec_lo, s36
	s_cbranch_vccz .LBB9_96
.LBB9_142:                              ;   in Loop: Header=BB9_97 Depth=2
	s_cmp_lt_i32 s3, s69
	s_mov_b32 s31, s67
	s_cselect_b32 s4, -1, 0
	s_cmp_ge_i32 s67, s50
	s_cselect_b32 s5, -1, 0
	s_delay_alu instid0(SALU_CYCLE_1)
	s_or_b32 s29, s4, s5
	s_branch .LBB9_96
.LBB9_143:                              ;   in Loop: Header=BB9_4 Depth=1
	s_mov_b32 s67, s31
.LBB9_144:                              ;   in Loop: Header=BB9_4 Depth=1
	s_delay_alu instid0(SALU_CYCLE_1)
	s_mov_b32 s37, s67
	v_cmp_lt_f64_e32 vcc_lo, s[14:15], v[4:5]
	s_and_not1_b32 vcc_lo, exec_lo, vcc_lo
	s_cbranch_vccnz .LBB9_148
.LBB9_145:                              ;   in Loop: Header=BB9_4 Depth=1
	s_waitcnt vmcnt(0)
	v_div_scale_f64 v[6:7], null, v[4:5], v[4:5], s[14:15]
	global_load_b64 v[10:11], v2, s[26:27]
	v_rcp_f64_e32 v[8:9], v[6:7]
	s_waitcnt_depctr 0xfff
	v_fma_f64 v[12:13], -v[6:7], v[8:9], 1.0
	s_delay_alu instid0(VALU_DEP_1) | instskip(NEXT) | instid1(VALU_DEP_1)
	v_fma_f64 v[8:9], v[8:9], v[12:13], v[8:9]
	v_fma_f64 v[12:13], -v[6:7], v[8:9], 1.0
	s_delay_alu instid0(VALU_DEP_1) | instskip(SKIP_1) | instid1(VALU_DEP_1)
	v_fma_f64 v[8:9], v[8:9], v[12:13], v[8:9]
	v_div_scale_f64 v[12:13], vcc_lo, s[14:15], v[4:5], s[14:15]
	v_mul_f64 v[14:15], v[12:13], v[8:9]
	s_delay_alu instid0(VALU_DEP_1) | instskip(NEXT) | instid1(VALU_DEP_1)
	v_fma_f64 v[6:7], -v[6:7], v[14:15], v[12:13]
	v_div_fmas_f64 v[6:7], v[6:7], v[8:9], v[14:15]
	s_and_b32 vcc_lo, exec_lo, s2
	s_delay_alu instid0(VALU_DEP_1) | instskip(SKIP_1) | instid1(VALU_DEP_1)
	v_div_fixup_f64 v[6:7], v[6:7], v[4:5], s[14:15]
	s_waitcnt vmcnt(0)
	v_mul_f64 v[8:9], v[6:7], v[10:11]
	global_store_b64 v2, v[8:9], s[26:27]
	s_cbranch_vccnz .LBB9_148
; %bb.146:                              ;   in Loop: Header=BB9_4 Depth=1
	s_add_u32 s4, s60, s24
	s_addc_u32 s5, s61, s25
	s_add_u32 s28, s56, s24
	s_addc_u32 s29, s57, s25
	s_mov_b32 s3, s68
	.p2align	6
.LBB9_147:                              ;   Parent Loop BB9_4 Depth=1
                                        ; =>  This Inner Loop Header: Depth=2
	global_load_b64 v[8:9], v2, s[4:5]
	s_add_i32 s3, s3, 1
	s_waitcnt vmcnt(0)
	v_mul_f64 v[8:9], v[6:7], v[8:9]
	global_store_b64 v2, v[8:9], s[4:5]
	global_load_b64 v[8:9], v2, s[28:29]
	s_add_u32 s4, s4, 8
	s_addc_u32 s5, s5, 0
	s_waitcnt vmcnt(0)
	v_mul_f64 v[8:9], v[6:7], v[8:9]
	global_store_b64 v2, v[8:9], s[28:29]
	s_add_u32 s28, s28, 8
	s_addc_u32 s29, s29, 0
	s_cmp_lt_i32 s3, s22
	s_cbranch_scc1 .LBB9_147
.LBB9_148:                              ;   in Loop: Header=BB9_4 Depth=1
	v_cmp_ngt_f64_e32 vcc_lo, s[18:19], v[4:5]
	s_cbranch_vccnz .LBB9_2
; %bb.149:                              ;   in Loop: Header=BB9_4 Depth=1
	s_waitcnt vmcnt(0)
	v_div_scale_f64 v[6:7], null, v[4:5], v[4:5], s[18:19]
	global_load_b64 v[10:11], v2, s[26:27]
	v_rcp_f64_e32 v[8:9], v[6:7]
	s_waitcnt_depctr 0xfff
	v_fma_f64 v[12:13], -v[6:7], v[8:9], 1.0
	s_delay_alu instid0(VALU_DEP_1) | instskip(NEXT) | instid1(VALU_DEP_1)
	v_fma_f64 v[8:9], v[8:9], v[12:13], v[8:9]
	v_fma_f64 v[12:13], -v[6:7], v[8:9], 1.0
	s_delay_alu instid0(VALU_DEP_1) | instskip(SKIP_1) | instid1(VALU_DEP_1)
	v_fma_f64 v[8:9], v[8:9], v[12:13], v[8:9]
	v_div_scale_f64 v[12:13], vcc_lo, s[18:19], v[4:5], s[18:19]
	v_mul_f64 v[14:15], v[12:13], v[8:9]
	s_delay_alu instid0(VALU_DEP_1) | instskip(NEXT) | instid1(VALU_DEP_1)
	v_fma_f64 v[6:7], -v[6:7], v[14:15], v[12:13]
	v_div_fmas_f64 v[6:7], v[6:7], v[8:9], v[14:15]
	s_and_b32 vcc_lo, exec_lo, s2
	s_delay_alu instid0(VALU_DEP_1) | instskip(SKIP_1) | instid1(VALU_DEP_1)
	v_div_fixup_f64 v[3:4], v[6:7], v[4:5], s[18:19]
	s_waitcnt vmcnt(0)
	v_mul_f64 v[5:6], v[3:4], v[10:11]
	global_store_b64 v2, v[5:6], s[26:27]
	s_cbranch_vccnz .LBB9_2
; %bb.150:                              ;   in Loop: Header=BB9_4 Depth=1
	s_add_u32 s2, s60, s24
	s_addc_u32 s3, s61, s25
	s_add_u32 s4, s56, s24
	s_addc_u32 s5, s57, s25
	.p2align	6
.LBB9_151:                              ;   Parent Loop BB9_4 Depth=1
                                        ; =>  This Inner Loop Header: Depth=2
	global_load_b64 v[5:6], v2, s[2:3]
	s_add_i32 s68, s68, 1
	s_waitcnt vmcnt(0)
	v_mul_f64 v[5:6], v[3:4], v[5:6]
	global_store_b64 v2, v[5:6], s[2:3]
	global_load_b64 v[5:6], v2, s[4:5]
	s_add_u32 s2, s2, 8
	s_addc_u32 s3, s3, 0
	s_waitcnt vmcnt(0)
	v_mul_f64 v[5:6], v[3:4], v[5:6]
	global_store_b64 v2, v[5:6], s[4:5]
	s_add_u32 s4, s4, 8
	s_addc_u32 s5, s5, 0
	s_cmp_lt_i32 s68, s22
	s_cbranch_scc1 .LBB9_151
	s_branch .LBB9_2
.LBB9_152:
	s_cmp_lt_i32 s33, 2
	s_cbranch_scc1 .LBB9_163
; %bb.153:
	s_load_b64 s[0:1], s[0:1], 0x28
	s_lshl_b64 s[2:3], s[20:21], 2
	v_mov_b32_e32 v0, 0
	s_waitcnt lgkmcnt(0)
	s_add_u32 s0, s0, s2
	s_addc_u32 s1, s1, s3
	s_mov_b32 s2, 1
	s_branch .LBB9_155
.LBB9_154:                              ;   in Loop: Header=BB9_155 Depth=1
	s_add_i32 s2, s2, 1
	s_add_u32 s10, s10, 8
	s_addc_u32 s11, s11, 0
	s_cmp_lg_u32 s33, s2
	s_cbranch_scc0 .LBB9_157
.LBB9_155:                              ; =>This Inner Loop Header: Depth=1
	global_load_b64 v[1:2], v0, s[10:11]
	s_waitcnt vmcnt(0)
	v_cmp_eq_f64_e32 vcc_lo, 0, v[1:2]
	s_cbranch_vccnz .LBB9_154
; %bb.156:                              ;   in Loop: Header=BB9_155 Depth=1
	global_load_b32 v1, v0, s[0:1]
	s_waitcnt vmcnt(0)
	v_add_nc_u32_e32 v1, 1, v1
	global_store_b32 v0, v1, s[0:1]
	s_branch .LBB9_154
.LBB9_157:
	s_add_u32 s10, s48, -8
	s_addc_u32 s11, s49, -1
	s_add_u32 s0, s6, s8
	v_mov_b32_e32 v4, 0
	s_addc_u32 s1, s7, s9
	s_add_u32 s0, s0, 8
	s_addc_u32 s1, s1, 0
	s_mov_b32 s2, 1
	s_set_inst_prefetch_distance 0x1
	s_branch .LBB9_159
	.p2align	6
.LBB9_158:                              ;   in Loop: Header=BB9_159 Depth=1
	s_add_i32 s2, s2, 1
	s_add_u32 s0, s0, 8
	s_addc_u32 s1, s1, 0
	s_cmp_lg_u32 s2, s33
	s_cbranch_scc0 .LBB9_163
.LBB9_159:                              ; =>This Loop Header: Depth=1
                                        ;     Child Loop BB9_160 Depth 2
	s_ashr_i32 s3, s2, 31
	s_mov_b64 s[8:9], s[0:1]
	s_lshl_b64 s[4:5], s[2:3], 3
	s_add_i32 s3, s2, -1
	s_add_u32 s4, s10, s4
	s_addc_u32 s5, s11, s5
	s_mov_b32 s7, s2
	global_load_b64 v[0:1], v4, s[4:5]
	s_mov_b32 s6, s3
	s_waitcnt vmcnt(0)
	v_dual_mov_b32 v3, v1 :: v_dual_mov_b32 v2, v0
.LBB9_160:                              ;   Parent Loop BB9_159 Depth=1
                                        ; =>  This Inner Loop Header: Depth=2
	global_load_b64 v[5:6], v4, s[8:9]
	s_waitcnt vmcnt(0)
	v_cmp_lt_f64_e32 vcc_lo, v[5:6], v[2:3]
	s_and_b32 s12, vcc_lo, exec_lo
	v_dual_cndmask_b32 v3, v3, v6 :: v_dual_cndmask_b32 v2, v2, v5
	s_cselect_b32 s6, s7, s6
	s_add_i32 s7, s7, 1
	s_add_u32 s8, s8, 8
	s_addc_u32 s9, s9, 0
	s_cmp_ge_i32 s7, s33
	s_cbranch_scc0 .LBB9_160
; %bb.161:                              ;   in Loop: Header=BB9_159 Depth=1
	s_cmp_lg_u32 s6, s3
	s_cbranch_scc0 .LBB9_158
; %bb.162:                              ;   in Loop: Header=BB9_159 Depth=1
	s_ashr_i32 s7, s6, 31
	s_delay_alu instid0(SALU_CYCLE_1) | instskip(NEXT) | instid1(SALU_CYCLE_1)
	s_lshl_b64 s[6:7], s[6:7], 3
	s_add_u32 s6, s48, s6
	s_addc_u32 s7, s49, s7
	s_clause 0x1
	global_store_b64 v4, v[0:1], s[6:7]
	global_store_b64 v4, v[2:3], s[4:5]
	s_branch .LBB9_158
.LBB9_163:
	s_set_inst_prefetch_distance 0x2
	s_nop 0
	s_sendmsg sendmsg(MSG_DEALLOC_VGPRS)
	s_endpgm
	.section	.rodata,"a",@progbits
	.p2align	6, 0x0
	.amdhsa_kernel _ZN9rocsolver6v33100L12sterf_kernelIdEEviPT_lS3_lPiS4_iS2_S2_S2_
		.amdhsa_group_segment_fixed_size 0
		.amdhsa_private_segment_fixed_size 0
		.amdhsa_kernarg_size 88
		.amdhsa_user_sgpr_count 15
		.amdhsa_user_sgpr_dispatch_ptr 0
		.amdhsa_user_sgpr_queue_ptr 0
		.amdhsa_user_sgpr_kernarg_segment_ptr 1
		.amdhsa_user_sgpr_dispatch_id 0
		.amdhsa_user_sgpr_private_segment_size 0
		.amdhsa_wavefront_size32 1
		.amdhsa_uses_dynamic_stack 0
		.amdhsa_enable_private_segment 0
		.amdhsa_system_sgpr_workgroup_id_x 1
		.amdhsa_system_sgpr_workgroup_id_y 0
		.amdhsa_system_sgpr_workgroup_id_z 0
		.amdhsa_system_sgpr_workgroup_info 0
		.amdhsa_system_vgpr_workitem_id 0
		.amdhsa_next_free_vgpr 38
		.amdhsa_next_free_sgpr 71
		.amdhsa_reserve_vcc 1
		.amdhsa_float_round_mode_32 0
		.amdhsa_float_round_mode_16_64 0
		.amdhsa_float_denorm_mode_32 3
		.amdhsa_float_denorm_mode_16_64 3
		.amdhsa_dx10_clamp 1
		.amdhsa_ieee_mode 1
		.amdhsa_fp16_overflow 0
		.amdhsa_workgroup_processor_mode 1
		.amdhsa_memory_ordered 1
		.amdhsa_forward_progress 0
		.amdhsa_shared_vgpr_count 0
		.amdhsa_exception_fp_ieee_invalid_op 0
		.amdhsa_exception_fp_denorm_src 0
		.amdhsa_exception_fp_ieee_div_zero 0
		.amdhsa_exception_fp_ieee_overflow 0
		.amdhsa_exception_fp_ieee_underflow 0
		.amdhsa_exception_fp_ieee_inexact 0
		.amdhsa_exception_int_div_zero 0
	.end_amdhsa_kernel
	.section	.text._ZN9rocsolver6v33100L12sterf_kernelIdEEviPT_lS3_lPiS4_iS2_S2_S2_,"axG",@progbits,_ZN9rocsolver6v33100L12sterf_kernelIdEEviPT_lS3_lPiS4_iS2_S2_S2_,comdat
.Lfunc_end9:
	.size	_ZN9rocsolver6v33100L12sterf_kernelIdEEviPT_lS3_lPiS4_iS2_S2_S2_, .Lfunc_end9-_ZN9rocsolver6v33100L12sterf_kernelIdEEviPT_lS3_lPiS4_iS2_S2_S2_
                                        ; -- End function
	.section	.AMDGPU.csdata,"",@progbits
; Kernel info:
; codeLenInByte = 10396
; NumSgprs: 73
; NumVgprs: 38
; ScratchSize: 0
; MemoryBound: 0
; FloatMode: 240
; IeeeMode: 1
; LDSByteSize: 0 bytes/workgroup (compile time only)
; SGPRBlocks: 9
; VGPRBlocks: 4
; NumSGPRsForWavesPerEU: 73
; NumVGPRsForWavesPerEU: 38
; Occupancy: 16
; WaveLimiterHint : 0
; COMPUTE_PGM_RSRC2:SCRATCH_EN: 0
; COMPUTE_PGM_RSRC2:USER_SGPR: 15
; COMPUTE_PGM_RSRC2:TRAP_HANDLER: 0
; COMPUTE_PGM_RSRC2:TGID_X_EN: 1
; COMPUTE_PGM_RSRC2:TGID_Y_EN: 0
; COMPUTE_PGM_RSRC2:TGID_Z_EN: 0
; COMPUTE_PGM_RSRC2:TIDIG_COMP_CNT: 0
	.section	.text._ZN9rocsolver6v33100L11lasr_kernelIddPdiEEv13rocblas_side_14rocblas_pivot_15rocblas_direct_T2_S6_PT0_lS8_lT1_lS6_lS6_,"axG",@progbits,_ZN9rocsolver6v33100L11lasr_kernelIddPdiEEv13rocblas_side_14rocblas_pivot_15rocblas_direct_T2_S6_PT0_lS8_lT1_lS6_lS6_,comdat
	.globl	_ZN9rocsolver6v33100L11lasr_kernelIddPdiEEv13rocblas_side_14rocblas_pivot_15rocblas_direct_T2_S6_PT0_lS8_lT1_lS6_lS6_ ; -- Begin function _ZN9rocsolver6v33100L11lasr_kernelIddPdiEEv13rocblas_side_14rocblas_pivot_15rocblas_direct_T2_S6_PT0_lS8_lT1_lS6_lS6_
	.p2align	8
	.type	_ZN9rocsolver6v33100L11lasr_kernelIddPdiEEv13rocblas_side_14rocblas_pivot_15rocblas_direct_T2_S6_PT0_lS8_lT1_lS6_lS6_,@function
_ZN9rocsolver6v33100L11lasr_kernelIddPdiEEv13rocblas_side_14rocblas_pivot_15rocblas_direct_T2_S6_PT0_lS8_lT1_lS6_lS6_: ; @_ZN9rocsolver6v33100L11lasr_kernelIddPdiEEv13rocblas_side_14rocblas_pivot_15rocblas_direct_T2_S6_PT0_lS8_lT1_lS6_lS6_
; %bb.0:
	s_load_b32 s33, s[0:1], 0x58
	s_waitcnt lgkmcnt(0)
	s_cmp_ge_u32 s15, s33
	s_cbranch_scc1 .LBB10_98
; %bb.1:
	s_clause 0x5
	s_load_b32 s12, s[0:1], 0x48
	s_load_b128 s[20:23], s[0:1], 0x38
	s_load_b64 s[24:25], s[0:1], 0x68
	s_load_b128 s[16:19], s[0:1], 0x0
	s_load_b32 s52, s[0:1], 0x10
	s_load_b32 s28, s[0:1], 0x60
	s_mov_b32 s43, 0
	v_mov_b32_e32 v34, 0
	s_mov_b32 s45, s43
	s_waitcnt lgkmcnt(0)
	s_ashr_i32 s13, s12, 31
	s_lshl_b64 s[2:3], s[22:23], 3
	s_and_b32 s26, s25, 0xffff
	s_add_u32 s25, s20, s2
	s_addc_u32 s53, s21, s3
	s_cmpk_lg_i32 s16, 0x8d
	v_mad_u64_u32 v[1:2], null, s14, s26, v[0:1]
	s_cselect_b32 s27, -1, 0
	s_cmpk_lg_i32 s16, 0x8e
	s_mov_b32 s22, s19
	s_cselect_b32 s30, -1, 0
	s_cmpk_lg_i32 s17, 0x119
	s_cselect_b32 s29, -1, 0
	s_cmpk_lg_i32 s17, 0x11b
	v_mad_i64_i32 v[2:3], null, s12, v1, 0
	s_cselect_b32 s31, -1, 0
	s_cmpk_lg_i32 s17, 0x11a
	s_load_b64 s[16:17], s[0:1], 0x50
	s_cselect_b32 s34, -1, 0
	s_cmpk_lg_i32 s18, 0xab
	s_mul_i32 s26, s28, s26
	s_cselect_b32 s35, -1, 0
	s_or_b32 s36, s27, s29
	s_ashr_i32 s23, s19, 31
	s_or_b32 s4, s36, s35
	s_add_i32 s42, s19, -2
	s_xor_b32 s14, s4, -1
	s_cmpk_lg_i32 s18, 0xac
	s_load_b256 s[4:11], s[0:1], 0x18
	s_cselect_b32 s37, -1, 0
	v_lshlrev_b64 v[2:3], 3, v[2:3]
	s_or_b32 s0, s36, s37
	v_cmp_le_i32_e32 vcc_lo, s19, v1
	s_xor_b32 s18, s0, -1
	s_cmp_gt_i32 s19, 1
	v_cmp_gt_i32_e64 s0, s52, v1
	s_cselect_b32 s54, -1, 0
	s_or_b32 s1, s27, s34
	s_or_b32 s27, s27, s31
	;; [unrolled: 1-line block ×9, first 2 shown]
	s_xor_b32 s55, s29, -1
	s_xor_b32 s56, s1, -1
	;; [unrolled: 1-line block ×5, first 2 shown]
	s_add_i32 s60, s52, -1
	s_xor_b32 s61, s28, -1
	s_add_i32 s44, s52, -2
	s_cmp_gt_i32 s52, 1
	s_mul_i32 s36, s12, s26
	s_cselect_b32 s62, -1, 0
	s_or_b32 s27, s30, s34
	s_lshl_b64 s[38:39], s[42:43], 3
	s_or_b32 s34, s27, s35
	s_or_b32 s27, s27, s37
	s_xor_b32 s63, s34, -1
	s_xor_b32 s64, s27, -1
	s_or_b32 s27, s30, s31
	s_or_b32 s30, s37, vcc_lo
	v_add_co_u32 v4, vcc_lo, v2, s2
	v_add_co_ci_u32_e32 v3, vcc_lo, s3, v3, vcc_lo
	s_or_b32 s31, s27, s35
	s_or_b32 s27, s27, s30
	s_mul_hi_i32 s37, s12, s26
	v_add_co_u32 v0, vcc_lo, s20, v4
	s_xor_b32 s65, s31, -1
	s_xor_b32 s66, s27, -1
	s_add_i32 s30, s19, -1
	s_waitcnt lgkmcnt(0)
	s_lshl_b64 s[34:35], s[16:17], 3
	s_ashr_i32 s27, s26, 31
	s_lshl_b64 s[36:37], s[36:37], 3
	s_lshl_b64 s[6:7], s[6:7], 3
	s_lshl_b64 s[10:11], s[10:11], 3
	v_add_co_ci_u32_e32 v17, vcc_lo, s21, v3, vcc_lo
	s_add_u32 s67, s4, s38
	s_addc_u32 s68, s5, s39
	s_add_u32 s69, s8, s38
	v_add_co_u32 v18, vcc_lo, v0, 8
	s_addc_u32 s70, s9, s39
	s_add_u32 s31, s20, s38
	v_add_co_ci_u32_e32 v19, vcc_lo, 0, v17, vcc_lo
	s_addc_u32 s38, s21, s39
	v_add_co_u32 v20, vcc_lo, s31, v4
	v_add_co_ci_u32_e32 v21, vcc_lo, s38, v3, vcc_lo
	s_mov_b32 s31, s43
	s_mul_i32 s28, s12, s60
	s_lshl_b64 s[38:39], s[30:31], 3
	v_add_co_u32 v22, vcc_lo, v20, 8
	s_add_i32 s31, s19, 1
	s_mul_i32 s40, s13, s60
	s_mul_hi_u32 s41, s12, s60
	s_add_u32 s38, s20, s38
	v_add_co_ci_u32_e32 v23, vcc_lo, 0, v21, vcc_lo
	s_addc_u32 s39, s21, s39
	s_add_i32 s41, s41, s40
	s_mov_b32 s40, s28
	v_add_co_u32 v24, vcc_lo, s38, v4
	s_lshl_b64 s[46:47], s[40:41], 3
	v_add_co_ci_u32_e32 v25, vcc_lo, s39, v3, vcc_lo
	s_lshl_b64 s[38:39], s[12:13], 3
	s_lshl_b64 s[40:41], s[26:27], 3
	s_add_u32 s27, s46, s2
	v_ashrrev_i32_e32 v2, 31, v1
	s_addc_u32 s42, s47, s3
	s_add_u32 s46, s20, s27
	s_addc_u32 s47, s21, s42
	s_lshl_b64 s[42:43], s[44:45], 3
	v_lshlrev_b64 v[2:3], 3, v[1:2]
	s_add_u32 s27, s4, s42
	s_addc_u32 s71, s5, s43
	s_add_u32 s72, s8, s42
	s_mul_i32 s42, s13, s44
	s_mul_hi_u32 s45, s12, s44
	s_addc_u32 s13, s9, s43
	s_add_i32 s43, s45, s42
	s_mul_i32 s42, s12, s44
	v_add_co_u32 v26, vcc_lo, s25, v2
	s_lshl_b64 s[42:43], s[42:43], 3
	v_add_co_ci_u32_e32 v27, vcc_lo, s53, v3, vcc_lo
	s_add_u32 s42, s42, s2
	s_addc_u32 s43, s43, s3
	v_add_co_u32 v28, vcc_lo, s46, v2
	s_add_u32 s42, s20, s42
	s_addc_u32 s43, s21, s43
	v_add_co_ci_u32_e32 v29, vcc_lo, s47, v3, vcc_lo
	s_add_u32 s2, s2, s38
	v_add_co_u32 v30, vcc_lo, s42, v2
	s_addc_u32 s3, s3, s39
	s_add_u32 s2, s20, s2
	v_add_co_ci_u32_e32 v31, vcc_lo, s43, v3, vcc_lo
	s_addc_u32 s3, s21, s3
	v_add_co_u32 v32, vcc_lo, s2, v2
	v_cmp_gt_i32_e64 s1, s19, v1
	v_add_co_ci_u32_e32 v33, vcc_lo, s3, v3, vcc_lo
	s_add_i32 s73, s52, 1
	s_sub_u32 s74, 0, s38
	s_mul_hi_i32 s29, s12, s60
	s_subb_u32 s75, 0, s39
	s_branch .LBB10_4
.LBB10_2:                               ;   in Loop: Header=BB10_4 Depth=1
	s_or_b32 exec_lo, exec_lo, s42
.LBB10_3:                               ;   in Loop: Header=BB10_4 Depth=1
	s_add_i32 s15, s15, s24
	s_delay_alu instid0(SALU_CYCLE_1)
	s_cmp_ge_u32 s15, s33
	s_cbranch_scc1 .LBB10_98
.LBB10_4:                               ; =>This Loop Header: Depth=1
                                        ;     Child Loop BB10_8 Depth 2
                                        ;       Child Loop BB10_9 Depth 3
                                        ;     Child Loop BB10_16 Depth 2
                                        ;       Child Loop BB10_17 Depth 3
	;; [unrolled: 2-line block ×12, first 2 shown]
	s_mul_i32 s2, s7, s15
	s_mul_hi_u32 s3, s6, s15
	s_mul_i32 s80, s6, s15
	s_add_i32 s51, s3, s2
	s_mul_i32 s2, s11, s15
	s_mul_hi_u32 s3, s10, s15
	s_mul_i32 s81, s10, s15
	s_add_i32 s50, s3, s2
	;; [unrolled: 4-line block ×3, first 2 shown]
	s_add_u32 s20, s4, s80
	s_addc_u32 s21, s5, s51
	s_mul_i32 s2, s15, s17
	s_mul_hi_u32 s3, s15, s16
	s_add_u32 s42, s8, s81
	s_addc_u32 s43, s9, s50
	s_add_i32 s3, s3, s2
	s_mul_i32 s2, s15, s16
	v_add_co_u32 v2, vcc_lo, v18, s79
	s_lshl_b64 s[2:3], s[2:3], 3
	v_add_co_ci_u32_e32 v3, vcc_lo, s78, v19, vcc_lo
	s_add_u32 s76, s25, s2
	s_addc_u32 s77, s53, s3
	s_and_not1_b32 vcc_lo, exec_lo, s14
	s_mov_b32 s2, -1
	s_cbranch_vccnz .LBB10_11
; %bb.5:                                ;   in Loop: Header=BB10_4 Depth=1
	s_and_saveexec_b32 s46, s0
	s_cbranch_execz .LBB10_10
; %bb.6:                                ;   in Loop: Header=BB10_4 Depth=1
	s_lshl_b64 s[2:3], s[22:23], 3
	v_dual_mov_b32 v5, v3 :: v_dual_mov_b32 v4, v2
	s_add_u32 s2, s76, s2
	v_mov_b32_e32 v12, v1
	s_addc_u32 s3, s77, s3
	s_add_u32 s47, s2, -8
	s_addc_u32 s48, s3, -1
	s_mov_b32 s49, 0
	s_branch .LBB10_8
.LBB10_7:                               ;   in Loop: Header=BB10_8 Depth=2
	v_add_nc_u32_e32 v12, s26, v12
	v_add_co_u32 v8, vcc_lo, s47, v8
	v_add_co_ci_u32_e32 v9, vcc_lo, s48, v9, vcc_lo
	s_delay_alu instid0(VALU_DEP_3) | instskip(SKIP_1) | instid1(VALU_DEP_1)
	v_cmp_le_i32_e32 vcc_lo, s52, v12
	v_add_co_u32 v4, s2, v4, s36
	v_add_co_ci_u32_e64 v5, s2, s37, v5, s2
	s_or_b32 s49, vcc_lo, s49
	s_waitcnt vmcnt(0)
	global_store_b64 v[8:9], v[6:7], off
	s_and_not1_b32 exec_lo, exec_lo, s49
	s_cbranch_execz .LBB10_10
.LBB10_8:                               ;   Parent Loop BB10_4 Depth=1
                                        ; =>  This Loop Header: Depth=2
                                        ;       Child Loop BB10_9 Depth 3
	v_mad_i64_i32 v[6:7], null, v12, s12, 0
	v_dual_mov_b32 v11, v5 :: v_dual_mov_b32 v10, v4
	s_mov_b64 s[2:3], s[42:43]
	s_mov_b64 s[44:45], s[20:21]
	s_mov_b32 s82, s30
	s_delay_alu instid0(VALU_DEP_2) | instskip(NEXT) | instid1(VALU_DEP_1)
	v_lshlrev_b64 v[8:9], 3, v[6:7]
	v_add_co_u32 v6, vcc_lo, s76, v8
	s_delay_alu instid0(VALU_DEP_2)
	v_add_co_ci_u32_e32 v7, vcc_lo, s77, v9, vcc_lo
	s_and_not1_b32 vcc_lo, exec_lo, s54
	global_load_b64 v[6:7], v[6:7], off
	s_cbranch_vccnz .LBB10_7
	.p2align	6
.LBB10_9:                               ;   Parent Loop BB10_4 Depth=1
                                        ;     Parent Loop BB10_8 Depth=2
                                        ; =>    This Inner Loop Header: Depth=3
	global_load_b64 v[13:14], v34, s[2:3]
	global_load_b64 v[15:16], v[10:11], off
	global_load_b64 v[35:36], v34, s[44:45]
	s_add_i32 s82, s82, -1
	s_add_u32 s44, s44, 8
	s_addc_u32 s45, s45, 0
	s_add_u32 s2, s2, 8
	s_addc_u32 s3, s3, 0
	s_cmp_eq_u32 s82, 0
	s_waitcnt vmcnt(1)
	v_mul_f64 v[37:38], v[13:14], v[15:16]
	v_mul_f64 v[13:14], v[6:7], v[13:14]
	s_waitcnt vmcnt(0)
	s_delay_alu instid0(VALU_DEP_2) | instskip(NEXT) | instid1(VALU_DEP_2)
	v_fma_f64 v[37:38], v[6:7], v[35:36], v[37:38]
	v_fma_f64 v[6:7], v[35:36], v[15:16], -v[13:14]
	global_store_b64 v[10:11], v[37:38], off offset:-8
	v_add_co_u32 v10, vcc_lo, v10, 8
	v_add_co_ci_u32_e32 v11, vcc_lo, 0, v11, vcc_lo
	s_cbranch_scc0 .LBB10_9
	s_branch .LBB10_7
.LBB10_10:                              ;   in Loop: Header=BB10_4 Depth=1
	s_or_b32 exec_lo, exec_lo, s46
	s_mov_b32 s2, 0
.LBB10_11:                              ;   in Loop: Header=BB10_4 Depth=1
	s_delay_alu instid0(SALU_CYCLE_1)
	s_and_not1_b32 vcc_lo, exec_lo, s2
	s_cbranch_vccnz .LBB10_3
; %bb.12:                               ;   in Loop: Header=BB10_4 Depth=1
	s_add_u32 s44, s67, s80
	s_addc_u32 s45, s68, s51
	s_add_u32 s46, s69, s81
	s_addc_u32 s47, s70, s50
	s_and_not1_b32 vcc_lo, exec_lo, s18
	s_mov_b32 s2, -1
	s_cbranch_vccnz .LBB10_19
; %bb.13:                               ;   in Loop: Header=BB10_4 Depth=1
	s_and_saveexec_b32 s82, s0
	s_cbranch_execz .LBB10_18
; %bb.14:                               ;   in Loop: Header=BB10_4 Depth=1
	s_lshl_b64 s[2:3], s[22:23], 3
	v_add_co_u32 v4, vcc_lo, v22, s79
	v_add_co_ci_u32_e32 v5, vcc_lo, s78, v23, vcc_lo
	s_add_u32 s2, s76, s2
	v_mov_b32_e32 v12, v1
	s_addc_u32 s3, s77, s3
	s_add_u32 s83, s2, -8
	s_addc_u32 s84, s3, -1
	s_mov_b32 s85, 0
	s_branch .LBB10_16
.LBB10_15:                              ;   in Loop: Header=BB10_16 Depth=2
	v_add_nc_u32_e32 v12, s26, v12
	v_add_co_u32 v8, vcc_lo, s76, v8
	v_add_co_ci_u32_e32 v9, vcc_lo, s77, v9, vcc_lo
	s_delay_alu instid0(VALU_DEP_3) | instskip(SKIP_1) | instid1(VALU_DEP_1)
	v_cmp_le_i32_e32 vcc_lo, s52, v12
	v_add_co_u32 v4, s2, v4, s36
	v_add_co_ci_u32_e64 v5, s2, s37, v5, s2
	s_or_b32 s85, vcc_lo, s85
	s_waitcnt vmcnt(0)
	global_store_b64 v[8:9], v[6:7], off
	s_and_not1_b32 exec_lo, exec_lo, s85
	s_cbranch_execz .LBB10_18
.LBB10_16:                              ;   Parent Loop BB10_4 Depth=1
                                        ; =>  This Loop Header: Depth=2
                                        ;       Child Loop BB10_17 Depth 3
	v_mad_i64_i32 v[6:7], null, v12, s12, 0
	v_dual_mov_b32 v11, v5 :: v_dual_mov_b32 v10, v4
	s_mov_b64 s[2:3], s[46:47]
	s_mov_b64 s[48:49], s[44:45]
	s_mov_b32 s86, s30
	s_delay_alu instid0(VALU_DEP_2) | instskip(NEXT) | instid1(VALU_DEP_1)
	v_lshlrev_b64 v[8:9], 3, v[6:7]
	v_add_co_u32 v6, vcc_lo, s83, v8
	s_delay_alu instid0(VALU_DEP_2)
	v_add_co_ci_u32_e32 v7, vcc_lo, s84, v9, vcc_lo
	s_and_not1_b32 vcc_lo, exec_lo, s54
	global_load_b64 v[6:7], v[6:7], off
	s_cbranch_vccnz .LBB10_15
	.p2align	6
.LBB10_17:                              ;   Parent Loop BB10_4 Depth=1
                                        ;     Parent Loop BB10_16 Depth=2
                                        ; =>    This Inner Loop Header: Depth=3
	global_load_b64 v[13:14], v34, s[2:3]
	global_load_b64 v[15:16], v[10:11], off offset:-8
	global_load_b64 v[35:36], v34, s[48:49]
	s_add_i32 s86, s86, -1
	s_add_u32 s48, s48, -8
	s_addc_u32 s49, s49, -1
	s_add_u32 s2, s2, -8
	s_addc_u32 s3, s3, -1
	s_cmp_eq_u32 s86, 0
	s_waitcnt vmcnt(1)
	v_mul_f64 v[37:38], v[13:14], v[15:16]
	s_waitcnt vmcnt(0)
	v_mul_f64 v[15:16], v[35:36], v[15:16]
	s_delay_alu instid0(VALU_DEP_2) | instskip(NEXT) | instid1(VALU_DEP_2)
	v_fma_f64 v[35:36], v[6:7], v[35:36], -v[37:38]
	v_fma_f64 v[6:7], v[6:7], v[13:14], v[15:16]
	v_add_co_u32 v13, vcc_lo, v10, -8
	v_add_co_ci_u32_e32 v14, vcc_lo, -1, v11, vcc_lo
	global_store_b64 v[10:11], v[35:36], off
	v_dual_mov_b32 v10, v13 :: v_dual_mov_b32 v11, v14
	s_cbranch_scc0 .LBB10_17
	s_branch .LBB10_15
.LBB10_18:                              ;   in Loop: Header=BB10_4 Depth=1
	s_or_b32 exec_lo, exec_lo, s82
	s_mov_b32 s2, 0
.LBB10_19:                              ;   in Loop: Header=BB10_4 Depth=1
	s_delay_alu instid0(SALU_CYCLE_1)
	s_and_not1_b32 vcc_lo, exec_lo, s2
	s_cbranch_vccnz .LBB10_3
; %bb.20:                               ;   in Loop: Header=BB10_4 Depth=1
	s_and_not1_b32 vcc_lo, exec_lo, s55
	s_mov_b32 s2, -1
	s_cbranch_vccnz .LBB10_27
; %bb.21:                               ;   in Loop: Header=BB10_4 Depth=1
	s_and_saveexec_b32 s82, s0
	s_cbranch_execz .LBB10_26
; %bb.22:                               ;   in Loop: Header=BB10_4 Depth=1
	v_mov_b32_e32 v10, v1
	s_mov_b32 s83, 0
	s_branch .LBB10_24
.LBB10_23:                              ;   in Loop: Header=BB10_24 Depth=2
	v_add_nc_u32_e32 v10, s26, v10
	v_add_co_u32 v2, s2, v2, s36
	s_delay_alu instid0(VALU_DEP_1) | instskip(NEXT) | instid1(VALU_DEP_3)
	v_add_co_ci_u32_e64 v3, s2, s37, v3, s2
	v_cmp_le_i32_e32 vcc_lo, s52, v10
	s_waitcnt vmcnt(0)
	global_store_b64 v[4:5], v[6:7], off
	s_or_b32 s83, vcc_lo, s83
	s_delay_alu instid0(SALU_CYCLE_1)
	s_and_not1_b32 exec_lo, exec_lo, s83
	s_cbranch_execz .LBB10_26
.LBB10_24:                              ;   Parent Loop BB10_4 Depth=1
                                        ; =>  This Loop Header: Depth=2
                                        ;       Child Loop BB10_25 Depth 3
	s_delay_alu instid0(VALU_DEP_1) | instskip(SKIP_4) | instid1(VALU_DEP_2)
	v_mad_i64_i32 v[4:5], null, v10, s12, 0
	v_dual_mov_b32 v9, v3 :: v_dual_mov_b32 v8, v2
	s_mov_b32 s84, s30
	s_mov_b64 s[2:3], s[20:21]
	s_mov_b64 s[48:49], s[42:43]
	v_lshlrev_b64 v[4:5], 3, v[4:5]
	s_delay_alu instid0(VALU_DEP_1) | instskip(NEXT) | instid1(VALU_DEP_2)
	v_add_co_u32 v4, vcc_lo, s76, v4
	v_add_co_ci_u32_e32 v5, vcc_lo, s77, v5, vcc_lo
	s_and_not1_b32 vcc_lo, exec_lo, s54
	global_load_b64 v[6:7], v[4:5], off
	s_cbranch_vccnz .LBB10_23
	.p2align	6
.LBB10_25:                              ;   Parent Loop BB10_4 Depth=1
                                        ;     Parent Loop BB10_24 Depth=2
                                        ; =>    This Inner Loop Header: Depth=3
	s_clause 0x1
	global_load_b64 v[11:12], v34, s[48:49]
	global_load_b64 v[13:14], v34, s[2:3]
	global_load_b64 v[15:16], v[8:9], off
	s_add_u32 s48, s48, 8
	s_addc_u32 s49, s49, 0
	s_add_u32 s2, s2, 8
	s_addc_u32 s3, s3, 0
	s_add_i32 s84, s84, -1
	s_delay_alu instid0(SALU_CYCLE_1) | instskip(SKIP_4) | instid1(VALU_DEP_2)
	s_cmp_eq_u32 s84, 0
	s_waitcnt vmcnt(2)
	v_mul_f64 v[35:36], v[6:7], v[11:12]
	s_waitcnt vmcnt(0)
	v_mul_f64 v[11:12], v[11:12], v[15:16]
	v_fma_f64 v[15:16], v[13:14], v[15:16], -v[35:36]
	s_delay_alu instid0(VALU_DEP_2)
	v_fma_f64 v[6:7], v[6:7], v[13:14], v[11:12]
	global_store_b64 v[8:9], v[15:16], off
	v_add_co_u32 v8, vcc_lo, v8, 8
	v_add_co_ci_u32_e32 v9, vcc_lo, 0, v9, vcc_lo
	s_cbranch_scc0 .LBB10_25
	s_branch .LBB10_23
.LBB10_26:                              ;   in Loop: Header=BB10_4 Depth=1
	s_or_b32 exec_lo, exec_lo, s82
	s_mov_b32 s2, 0
.LBB10_27:                              ;   in Loop: Header=BB10_4 Depth=1
	s_delay_alu instid0(SALU_CYCLE_1)
	s_and_not1_b32 vcc_lo, exec_lo, s2
	s_cbranch_vccnz .LBB10_3
; %bb.28:                               ;   in Loop: Header=BB10_4 Depth=1
	s_and_not1_b32 vcc_lo, exec_lo, s56
	s_mov_b32 s2, -1
	s_cbranch_vccnz .LBB10_35
; %bb.29:                               ;   in Loop: Header=BB10_4 Depth=1
	s_and_saveexec_b32 s82, s0
	s_cbranch_execz .LBB10_34
; %bb.30:                               ;   in Loop: Header=BB10_4 Depth=1
	v_add_co_u32 v2, vcc_lo, v24, s79
	v_add_co_ci_u32_e32 v3, vcc_lo, s78, v25, vcc_lo
	v_mov_b32_e32 v10, v1
	s_mov_b32 s83, 0
	s_branch .LBB10_32
.LBB10_31:                              ;   in Loop: Header=BB10_32 Depth=2
	v_add_nc_u32_e32 v10, s26, v10
	v_add_co_u32 v2, s2, v2, s36
	s_delay_alu instid0(VALU_DEP_1) | instskip(NEXT) | instid1(VALU_DEP_3)
	v_add_co_ci_u32_e64 v3, s2, s37, v3, s2
	v_cmp_le_i32_e32 vcc_lo, s52, v10
	s_waitcnt vmcnt(0)
	global_store_b64 v[4:5], v[6:7], off
	s_or_b32 s83, vcc_lo, s83
	s_delay_alu instid0(SALU_CYCLE_1)
	s_and_not1_b32 exec_lo, exec_lo, s83
	s_cbranch_execz .LBB10_34
.LBB10_32:                              ;   Parent Loop BB10_4 Depth=1
                                        ; =>  This Loop Header: Depth=2
                                        ;       Child Loop BB10_33 Depth 3
	s_delay_alu instid0(VALU_DEP_1) | instskip(SKIP_4) | instid1(VALU_DEP_2)
	v_mad_i64_i32 v[4:5], null, v10, s12, 0
	v_dual_mov_b32 v9, v3 :: v_dual_mov_b32 v8, v2
	s_mov_b64 s[2:3], s[46:47]
	s_mov_b64 s[48:49], s[44:45]
	s_mov_b32 s84, s31
	v_lshlrev_b64 v[4:5], 3, v[4:5]
	s_delay_alu instid0(VALU_DEP_1) | instskip(NEXT) | instid1(VALU_DEP_2)
	v_add_co_u32 v4, vcc_lo, s76, v4
	v_add_co_ci_u32_e32 v5, vcc_lo, s77, v5, vcc_lo
	s_and_not1_b32 vcc_lo, exec_lo, s54
	global_load_b64 v[6:7], v[4:5], off
	s_cbranch_vccnz .LBB10_31
	.p2align	6
.LBB10_33:                              ;   Parent Loop BB10_4 Depth=1
                                        ;     Parent Loop BB10_32 Depth=2
                                        ; =>    This Inner Loop Header: Depth=3
	s_clause 0x1
	global_load_b64 v[11:12], v34, s[2:3]
	global_load_b64 v[13:14], v34, s[48:49]
	global_load_b64 v[15:16], v[8:9], off
	s_add_i32 s84, s84, -1
	s_add_u32 s48, s48, -8
	s_addc_u32 s49, s49, -1
	s_add_u32 s2, s2, -8
	s_addc_u32 s3, s3, -1
	s_cmp_lt_u32 s84, 3
	s_waitcnt vmcnt(2)
	v_mul_f64 v[35:36], v[6:7], v[11:12]
	s_waitcnt vmcnt(0)
	v_mul_f64 v[11:12], v[11:12], v[15:16]
	s_delay_alu instid0(VALU_DEP_2) | instskip(NEXT) | instid1(VALU_DEP_2)
	v_fma_f64 v[15:16], v[13:14], v[15:16], -v[35:36]
	v_fma_f64 v[6:7], v[6:7], v[13:14], v[11:12]
	global_store_b64 v[8:9], v[15:16], off
	v_add_co_u32 v8, vcc_lo, v8, -8
	v_add_co_ci_u32_e32 v9, vcc_lo, -1, v9, vcc_lo
	s_cbranch_scc0 .LBB10_33
	s_branch .LBB10_31
.LBB10_34:                              ;   in Loop: Header=BB10_4 Depth=1
	s_or_b32 exec_lo, exec_lo, s82
	s_mov_b32 s2, 0
.LBB10_35:                              ;   in Loop: Header=BB10_4 Depth=1
	s_delay_alu instid0(SALU_CYCLE_1)
	s_and_not1_b32 vcc_lo, exec_lo, s2
	s_cbranch_vccnz .LBB10_3
; %bb.36:                               ;   in Loop: Header=BB10_4 Depth=1
	s_and_not1_b32 vcc_lo, exec_lo, s57
	s_mov_b32 s2, -1
	s_cbranch_vccnz .LBB10_43
; %bb.37:                               ;   in Loop: Header=BB10_4 Depth=1
	s_and_saveexec_b32 s82, s0
	s_cbranch_execz .LBB10_42
; %bb.38:                               ;   in Loop: Header=BB10_4 Depth=1
	s_lshl_b64 s[2:3], s[22:23], 3
	v_add_co_u32 v2, vcc_lo, v0, s79
	v_add_co_ci_u32_e32 v3, vcc_lo, s78, v17, vcc_lo
	s_add_u32 s2, s76, s2
	v_mov_b32_e32 v10, v1
	s_addc_u32 s3, s77, s3
	s_add_u32 s83, s2, -8
	s_addc_u32 s84, s3, -1
	s_mov_b32 s85, 0
	s_branch .LBB10_40
.LBB10_39:                              ;   in Loop: Header=BB10_40 Depth=2
	v_add_nc_u32_e32 v10, s26, v10
	v_add_co_u32 v2, s2, v2, s36
	s_delay_alu instid0(VALU_DEP_1) | instskip(NEXT) | instid1(VALU_DEP_3)
	v_add_co_ci_u32_e64 v3, s2, s37, v3, s2
	v_cmp_le_i32_e32 vcc_lo, s52, v10
	s_waitcnt vmcnt(0)
	global_store_b64 v[4:5], v[6:7], off
	s_or_b32 s85, vcc_lo, s85
	s_delay_alu instid0(SALU_CYCLE_1)
	s_and_not1_b32 exec_lo, exec_lo, s85
	s_cbranch_execz .LBB10_42
.LBB10_40:                              ;   Parent Loop BB10_4 Depth=1
                                        ; =>  This Loop Header: Depth=2
                                        ;       Child Loop BB10_41 Depth 3
	v_mad_i64_i32 v[4:5], null, v10, s12, 0
	v_dual_mov_b32 v9, v3 :: v_dual_mov_b32 v8, v2
	s_mov_b64 s[2:3], s[42:43]
	s_mov_b64 s[48:49], s[20:21]
	s_mov_b32 s86, s30
	s_delay_alu instid0(VALU_DEP_2) | instskip(NEXT) | instid1(VALU_DEP_1)
	v_lshlrev_b64 v[4:5], 3, v[4:5]
	v_add_co_u32 v4, vcc_lo, s83, v4
	s_delay_alu instid0(VALU_DEP_2)
	v_add_co_ci_u32_e32 v5, vcc_lo, s84, v5, vcc_lo
	s_and_not1_b32 vcc_lo, exec_lo, s54
	global_load_b64 v[6:7], v[4:5], off
	s_cbranch_vccnz .LBB10_39
	.p2align	6
.LBB10_41:                              ;   Parent Loop BB10_4 Depth=1
                                        ;     Parent Loop BB10_40 Depth=2
                                        ; =>    This Inner Loop Header: Depth=3
	global_load_b64 v[11:12], v[8:9], off
	s_clause 0x1
	global_load_b64 v[13:14], v34, s[48:49]
	global_load_b64 v[15:16], v34, s[2:3]
	s_add_i32 s86, s86, -1
	s_add_u32 s48, s48, 8
	s_addc_u32 s49, s49, 0
	s_add_u32 s2, s2, 8
	s_addc_u32 s3, s3, 0
	s_cmp_eq_u32 s86, 0
	s_waitcnt vmcnt(1)
	v_mul_f64 v[35:36], v[13:14], v[11:12]
	s_waitcnt vmcnt(0)
	v_mul_f64 v[11:12], v[15:16], v[11:12]
	s_delay_alu instid0(VALU_DEP_2) | instskip(NEXT) | instid1(VALU_DEP_2)
	v_fma_f64 v[15:16], v[6:7], v[15:16], v[35:36]
	v_fma_f64 v[6:7], v[6:7], v[13:14], -v[11:12]
	global_store_b64 v[8:9], v[15:16], off
	v_add_co_u32 v8, vcc_lo, v8, 8
	v_add_co_ci_u32_e32 v9, vcc_lo, 0, v9, vcc_lo
	s_cbranch_scc0 .LBB10_41
	s_branch .LBB10_39
.LBB10_42:                              ;   in Loop: Header=BB10_4 Depth=1
	s_or_b32 exec_lo, exec_lo, s82
	s_mov_b32 s2, 0
.LBB10_43:                              ;   in Loop: Header=BB10_4 Depth=1
	s_delay_alu instid0(SALU_CYCLE_1)
	s_and_not1_b32 vcc_lo, exec_lo, s2
	s_cbranch_vccnz .LBB10_3
; %bb.44:                               ;   in Loop: Header=BB10_4 Depth=1
	s_and_not1_b32 vcc_lo, exec_lo, s58
	s_mov_b32 s2, -1
	s_cbranch_vccnz .LBB10_51
; %bb.45:                               ;   in Loop: Header=BB10_4 Depth=1
	s_and_saveexec_b32 s82, s0
	s_cbranch_execz .LBB10_50
; %bb.46:                               ;   in Loop: Header=BB10_4 Depth=1
	s_lshl_b64 s[2:3], s[22:23], 3
	v_add_co_u32 v2, vcc_lo, v20, s79
	v_add_co_ci_u32_e32 v3, vcc_lo, s78, v21, vcc_lo
	s_add_u32 s2, s76, s2
	v_mov_b32_e32 v10, v1
	s_addc_u32 s3, s77, s3
	s_add_u32 s83, s2, -8
	s_addc_u32 s84, s3, -1
	s_mov_b32 s85, 0
	s_branch .LBB10_48
.LBB10_47:                              ;   in Loop: Header=BB10_48 Depth=2
	v_add_nc_u32_e32 v10, s26, v10
	v_add_co_u32 v2, s2, v2, s36
	s_delay_alu instid0(VALU_DEP_1) | instskip(NEXT) | instid1(VALU_DEP_3)
	v_add_co_ci_u32_e64 v3, s2, s37, v3, s2
	v_cmp_le_i32_e32 vcc_lo, s52, v10
	s_waitcnt vmcnt(0)
	global_store_b64 v[4:5], v[6:7], off
	s_or_b32 s85, vcc_lo, s85
	s_delay_alu instid0(SALU_CYCLE_1)
	s_and_not1_b32 exec_lo, exec_lo, s85
	s_cbranch_execz .LBB10_50
.LBB10_48:                              ;   Parent Loop BB10_4 Depth=1
                                        ; =>  This Loop Header: Depth=2
                                        ;       Child Loop BB10_49 Depth 3
	v_mad_i64_i32 v[4:5], null, v10, s12, 0
	v_dual_mov_b32 v9, v3 :: v_dual_mov_b32 v8, v2
	s_mov_b64 s[2:3], s[46:47]
	s_mov_b64 s[48:49], s[44:45]
	s_mov_b32 s86, s30
	s_delay_alu instid0(VALU_DEP_2) | instskip(NEXT) | instid1(VALU_DEP_1)
	v_lshlrev_b64 v[4:5], 3, v[4:5]
	v_add_co_u32 v4, vcc_lo, s83, v4
	s_delay_alu instid0(VALU_DEP_2)
	v_add_co_ci_u32_e32 v5, vcc_lo, s84, v5, vcc_lo
	s_and_not1_b32 vcc_lo, exec_lo, s54
	global_load_b64 v[6:7], v[4:5], off
	s_cbranch_vccnz .LBB10_47
	.p2align	6
.LBB10_49:                              ;   Parent Loop BB10_4 Depth=1
                                        ;     Parent Loop BB10_48 Depth=2
                                        ; =>    This Inner Loop Header: Depth=3
	global_load_b64 v[11:12], v[8:9], off
	s_clause 0x1
	global_load_b64 v[13:14], v34, s[48:49]
	global_load_b64 v[15:16], v34, s[2:3]
	s_add_i32 s86, s86, -1
	s_add_u32 s48, s48, -8
	s_addc_u32 s49, s49, -1
	s_add_u32 s2, s2, -8
	s_addc_u32 s3, s3, -1
	s_cmp_eq_u32 s86, 0
	s_waitcnt vmcnt(1)
	v_mul_f64 v[35:36], v[13:14], v[11:12]
	s_waitcnt vmcnt(0)
	v_mul_f64 v[11:12], v[15:16], v[11:12]
	s_delay_alu instid0(VALU_DEP_2) | instskip(NEXT) | instid1(VALU_DEP_2)
	v_fma_f64 v[15:16], v[6:7], v[15:16], v[35:36]
	v_fma_f64 v[6:7], v[6:7], v[13:14], -v[11:12]
	global_store_b64 v[8:9], v[15:16], off
	v_add_co_u32 v8, vcc_lo, v8, -8
	v_add_co_ci_u32_e32 v9, vcc_lo, -1, v9, vcc_lo
	s_cbranch_scc0 .LBB10_49
	s_branch .LBB10_47
.LBB10_50:                              ;   in Loop: Header=BB10_4 Depth=1
	s_or_b32 exec_lo, exec_lo, s82
	s_mov_b32 s2, 0
.LBB10_51:                              ;   in Loop: Header=BB10_4 Depth=1
	s_delay_alu instid0(SALU_CYCLE_1)
	s_and_not1_b32 vcc_lo, exec_lo, s2
	s_cbranch_vccnz .LBB10_3
; %bb.52:                               ;   in Loop: Header=BB10_4 Depth=1
	v_add_co_u32 v2, vcc_lo, v26, s79
	v_add_co_ci_u32_e32 v3, vcc_lo, s78, v27, vcc_lo
	s_and_not1_b32 vcc_lo, exec_lo, s59
	s_mov_b32 s2, -1
	s_cbranch_vccnz .LBB10_59
; %bb.53:                               ;   in Loop: Header=BB10_4 Depth=1
	s_and_saveexec_b32 s46, s1
	s_cbranch_execz .LBB10_58
; %bb.54:                               ;   in Loop: Header=BB10_4 Depth=1
	s_lshl_b64 s[2:3], s[28:29], 3
	v_dual_mov_b32 v5, v3 :: v_dual_mov_b32 v4, v2
	v_mov_b32_e32 v6, v1
	s_add_u32 s47, s76, s2
	s_addc_u32 s48, s77, s3
	s_mov_b32 s49, 0
	s_branch .LBB10_56
.LBB10_55:                              ;   in Loop: Header=BB10_56 Depth=2
	v_add_nc_u32_e32 v6, s26, v6
	v_add_co_u32 v9, vcc_lo, s47, v9
	v_add_co_ci_u32_e32 v10, vcc_lo, s48, v10, vcc_lo
	s_delay_alu instid0(VALU_DEP_3) | instskip(SKIP_1) | instid1(VALU_DEP_1)
	v_cmp_le_i32_e32 vcc_lo, s19, v6
	v_add_co_u32 v4, s2, v4, s40
	v_add_co_ci_u32_e64 v5, s2, s41, v5, s2
	s_or_b32 s49, vcc_lo, s49
	s_waitcnt vmcnt(0)
	global_store_b64 v[9:10], v[7:8], off
	s_and_not1_b32 exec_lo, exec_lo, s49
	s_cbranch_execz .LBB10_58
.LBB10_56:                              ;   Parent Loop BB10_4 Depth=1
                                        ; =>  This Loop Header: Depth=2
                                        ;       Child Loop BB10_57 Depth 3
	v_ashrrev_i32_e32 v7, 31, v6
	v_dual_mov_b32 v12, v5 :: v_dual_mov_b32 v11, v4
	s_mov_b64 s[2:3], s[42:43]
	s_mov_b64 s[44:45], s[20:21]
	s_delay_alu instid0(VALU_DEP_2) | instskip(SKIP_1) | instid1(VALU_DEP_1)
	v_lshlrev_b64 v[9:10], 3, v[6:7]
	s_mov_b32 s82, s60
	v_add_co_u32 v7, vcc_lo, s76, v9
	s_delay_alu instid0(VALU_DEP_2)
	v_add_co_ci_u32_e32 v8, vcc_lo, s77, v10, vcc_lo
	s_and_not1_b32 vcc_lo, exec_lo, s62
	global_load_b64 v[7:8], v[7:8], off
	s_cbranch_vccnz .LBB10_55
	.p2align	6
.LBB10_57:                              ;   Parent Loop BB10_4 Depth=1
                                        ;     Parent Loop BB10_56 Depth=2
                                        ; =>    This Inner Loop Header: Depth=3
	s_delay_alu instid0(VALU_DEP_1) | instskip(NEXT) | instid1(VALU_DEP_2)
	v_add_co_u32 v13, vcc_lo, v11, s38
	v_add_co_ci_u32_e32 v14, vcc_lo, s39, v12, vcc_lo
	s_add_i32 s82, s82, -1
	global_load_b64 v[15:16], v34, s[2:3]
	global_load_b64 v[35:36], v[13:14], off
	global_load_b64 v[37:38], v34, s[44:45]
	s_add_u32 s44, s44, 8
	s_addc_u32 s45, s45, 0
	s_add_u32 s2, s2, 8
	s_addc_u32 s3, s3, 0
	s_cmp_eq_u32 s82, 0
	s_waitcnt vmcnt(1)
	v_mul_f64 v[39:40], v[15:16], v[35:36]
	v_mul_f64 v[15:16], v[7:8], v[15:16]
	s_waitcnt vmcnt(0)
	s_delay_alu instid0(VALU_DEP_2) | instskip(NEXT) | instid1(VALU_DEP_2)
	v_fma_f64 v[39:40], v[7:8], v[37:38], v[39:40]
	v_fma_f64 v[7:8], v[37:38], v[35:36], -v[15:16]
	global_store_b64 v[11:12], v[39:40], off
	v_dual_mov_b32 v11, v13 :: v_dual_mov_b32 v12, v14
	s_cbranch_scc0 .LBB10_57
	s_branch .LBB10_55
.LBB10_58:                              ;   in Loop: Header=BB10_4 Depth=1
	s_or_b32 exec_lo, exec_lo, s46
	s_mov_b32 s2, 0
.LBB10_59:                              ;   in Loop: Header=BB10_4 Depth=1
	s_delay_alu instid0(SALU_CYCLE_1)
	s_and_not1_b32 vcc_lo, exec_lo, s2
	s_cbranch_vccnz .LBB10_3
; %bb.60:                               ;   in Loop: Header=BB10_4 Depth=1
	v_add_co_u32 v4, vcc_lo, v30, s79
	v_add_co_ci_u32_e32 v5, vcc_lo, s78, v31, vcc_lo
	v_add_co_u32 v6, vcc_lo, v28, s79
	s_add_u32 s44, s27, s80
	v_add_co_ci_u32_e32 v7, vcc_lo, s78, v29, vcc_lo
	s_addc_u32 s45, s71, s51
	s_add_u32 s46, s72, s81
	s_addc_u32 s47, s13, s50
	s_and_not1_b32 vcc_lo, exec_lo, s61
	s_mov_b32 s2, -1
	s_cbranch_vccnz .LBB10_68
; %bb.61:                               ;   in Loop: Header=BB10_4 Depth=1
	s_and_saveexec_b32 s80, s1
	s_cbranch_execz .LBB10_67
; %bb.62:                               ;   in Loop: Header=BB10_4 Depth=1
	s_lshl_b64 s[2:3], s[28:29], 3
	v_dual_mov_b32 v9, v5 :: v_dual_mov_b32 v8, v4
	v_dual_mov_b32 v11, v7 :: v_dual_mov_b32 v10, v6
	v_mov_b32_e32 v12, v1
	s_add_u32 s81, s76, s2
	s_addc_u32 s82, s77, s3
	s_mov_b32 s83, 0
	s_branch .LBB10_64
.LBB10_63:                              ;   in Loop: Header=BB10_64 Depth=2
	v_add_co_u32 v15, vcc_lo, s76, v15
	v_add_nc_u32_e32 v12, s26, v12
	v_add_co_ci_u32_e32 v16, vcc_lo, s77, v16, vcc_lo
	v_add_co_u32 v10, vcc_lo, v10, s40
	v_add_co_ci_u32_e32 v11, vcc_lo, s41, v11, vcc_lo
	s_delay_alu instid0(VALU_DEP_4) | instskip(SKIP_1) | instid1(VALU_DEP_1)
	v_cmp_le_i32_e32 vcc_lo, s19, v12
	v_add_co_u32 v8, s2, v8, s40
	v_add_co_ci_u32_e64 v9, s2, s41, v9, s2
	s_or_b32 s83, vcc_lo, s83
	s_waitcnt vmcnt(0)
	global_store_b64 v[15:16], v[13:14], off
	s_and_not1_b32 exec_lo, exec_lo, s83
	s_cbranch_execz .LBB10_67
.LBB10_64:                              ;   Parent Loop BB10_4 Depth=1
                                        ; =>  This Loop Header: Depth=2
                                        ;       Child Loop BB10_66 Depth 3
	v_ashrrev_i32_e32 v13, 31, v12
	s_delay_alu instid0(VALU_DEP_1) | instskip(NEXT) | instid1(VALU_DEP_1)
	v_lshlrev_b64 v[15:16], 3, v[12:13]
	v_add_co_u32 v13, vcc_lo, s81, v15
	s_delay_alu instid0(VALU_DEP_2)
	v_add_co_ci_u32_e32 v14, vcc_lo, s82, v16, vcc_lo
	s_and_not1_b32 vcc_lo, exec_lo, s62
	global_load_b64 v[13:14], v[13:14], off
	s_cbranch_vccnz .LBB10_63
; %bb.65:                               ;   in Loop: Header=BB10_64 Depth=2
	s_mov_b64 s[2:3], 0
	s_mov_b64 s[48:49], s[46:47]
	;; [unrolled: 1-line block ×3, first 2 shown]
	s_mov_b32 s84, s60
	.p2align	6
.LBB10_66:                              ;   Parent Loop BB10_4 Depth=1
                                        ;     Parent Loop BB10_64 Depth=2
                                        ; =>    This Inner Loop Header: Depth=3
	v_add_co_u32 v35, vcc_lo, v8, s2
	v_add_co_ci_u32_e32 v36, vcc_lo, s3, v9, vcc_lo
	s_add_i32 s84, s84, -1
	s_clause 0x1
	global_load_b64 v[37:38], v34, s[50:51]
	global_load_b64 v[39:40], v34, s[48:49]
	global_load_b64 v[35:36], v[35:36], off
	s_waitcnt vmcnt(0)
	v_mul_f64 v[41:42], v[39:40], v[35:36]
	v_mul_f64 v[35:36], v[37:38], v[35:36]
	s_delay_alu instid0(VALU_DEP_2) | instskip(NEXT) | instid1(VALU_DEP_2)
	v_fma_f64 v[37:38], v[13:14], v[37:38], -v[41:42]
	v_fma_f64 v[13:14], v[13:14], v[39:40], v[35:36]
	v_add_co_u32 v35, vcc_lo, v10, s2
	s_sub_u32 s2, s2, s38
	v_add_co_ci_u32_e32 v36, vcc_lo, s3, v11, vcc_lo
	s_subb_u32 s3, s3, s39
	s_add_u32 s50, s50, -8
	s_addc_u32 s51, s51, -1
	s_add_u32 s48, s48, -8
	s_addc_u32 s49, s49, -1
	s_cmp_eq_u32 s84, 0
	global_store_b64 v[35:36], v[37:38], off
	s_cbranch_scc0 .LBB10_66
	s_branch .LBB10_63
.LBB10_67:                              ;   in Loop: Header=BB10_4 Depth=1
	s_or_b32 exec_lo, exec_lo, s80
	s_mov_b32 s2, 0
.LBB10_68:                              ;   in Loop: Header=BB10_4 Depth=1
	s_delay_alu instid0(SALU_CYCLE_1)
	s_and_not1_b32 vcc_lo, exec_lo, s2
	s_cbranch_vccnz .LBB10_3
; %bb.69:                               ;   in Loop: Header=BB10_4 Depth=1
	s_and_not1_b32 vcc_lo, exec_lo, s63
	s_mov_b32 s2, -1
	s_cbranch_vccnz .LBB10_76
; %bb.70:                               ;   in Loop: Header=BB10_4 Depth=1
	s_and_saveexec_b32 s50, s1
	s_cbranch_execz .LBB10_75
; %bb.71:                               ;   in Loop: Header=BB10_4 Depth=1
	v_add_co_u32 v8, vcc_lo, v32, s79
	v_add_co_ci_u32_e32 v9, vcc_lo, s78, v33, vcc_lo
	v_mov_b32_e32 v10, v1
	s_mov_b32 s51, 0
	s_branch .LBB10_73
.LBB10_72:                              ;   in Loop: Header=BB10_73 Depth=2
	v_add_nc_u32_e32 v10, s26, v10
	v_add_co_u32 v8, s2, v8, s40
	s_delay_alu instid0(VALU_DEP_1) | instskip(NEXT) | instid1(VALU_DEP_3)
	v_add_co_ci_u32_e64 v9, s2, s41, v9, s2
	v_cmp_le_i32_e32 vcc_lo, s19, v10
	s_waitcnt vmcnt(0)
	global_store_b64 v[11:12], v[13:14], off
	s_or_b32 s51, vcc_lo, s51
	s_delay_alu instid0(SALU_CYCLE_1)
	s_and_not1_b32 exec_lo, exec_lo, s51
	s_cbranch_execz .LBB10_75
.LBB10_73:                              ;   Parent Loop BB10_4 Depth=1
                                        ; =>  This Loop Header: Depth=2
                                        ;       Child Loop BB10_74 Depth 3
	s_delay_alu instid0(VALU_DEP_1) | instskip(SKIP_3) | instid1(VALU_DEP_2)
	v_ashrrev_i32_e32 v11, 31, v10
	v_dual_mov_b32 v16, v9 :: v_dual_mov_b32 v15, v8
	s_mov_b32 s78, s60
	s_mov_b64 s[2:3], s[20:21]
	v_lshlrev_b64 v[11:12], 3, v[10:11]
	s_mov_b64 s[48:49], s[42:43]
	s_delay_alu instid0(VALU_DEP_1) | instskip(NEXT) | instid1(VALU_DEP_2)
	v_add_co_u32 v11, vcc_lo, s76, v11
	v_add_co_ci_u32_e32 v12, vcc_lo, s77, v12, vcc_lo
	s_and_not1_b32 vcc_lo, exec_lo, s62
	global_load_b64 v[13:14], v[11:12], off
	s_cbranch_vccnz .LBB10_72
	.p2align	6
.LBB10_74:                              ;   Parent Loop BB10_4 Depth=1
                                        ;     Parent Loop BB10_73 Depth=2
                                        ; =>    This Inner Loop Header: Depth=3
	s_clause 0x1
	global_load_b64 v[35:36], v34, s[48:49]
	global_load_b64 v[37:38], v34, s[2:3]
	global_load_b64 v[39:40], v[15:16], off
	s_add_u32 s48, s48, 8
	s_addc_u32 s49, s49, 0
	s_add_u32 s2, s2, 8
	s_addc_u32 s3, s3, 0
	s_add_i32 s78, s78, -1
	s_delay_alu instid0(SALU_CYCLE_1) | instskip(SKIP_4) | instid1(VALU_DEP_2)
	s_cmp_eq_u32 s78, 0
	s_waitcnt vmcnt(2)
	v_mul_f64 v[41:42], v[13:14], v[35:36]
	s_waitcnt vmcnt(0)
	v_mul_f64 v[35:36], v[35:36], v[39:40]
	v_fma_f64 v[39:40], v[37:38], v[39:40], -v[41:42]
	s_delay_alu instid0(VALU_DEP_2)
	v_fma_f64 v[13:14], v[13:14], v[37:38], v[35:36]
	global_store_b64 v[15:16], v[39:40], off
	v_add_co_u32 v15, vcc_lo, v15, s38
	v_add_co_ci_u32_e32 v16, vcc_lo, s39, v16, vcc_lo
	s_cbranch_scc0 .LBB10_74
	s_branch .LBB10_72
.LBB10_75:                              ;   in Loop: Header=BB10_4 Depth=1
	s_or_b32 exec_lo, exec_lo, s50
	s_mov_b32 s2, 0
.LBB10_76:                              ;   in Loop: Header=BB10_4 Depth=1
	s_delay_alu instid0(SALU_CYCLE_1)
	s_and_not1_b32 vcc_lo, exec_lo, s2
	s_cbranch_vccnz .LBB10_3
; %bb.77:                               ;   in Loop: Header=BB10_4 Depth=1
	s_and_not1_b32 vcc_lo, exec_lo, s64
	s_mov_b32 s2, -1
	s_cbranch_vccnz .LBB10_84
; %bb.78:                               ;   in Loop: Header=BB10_4 Depth=1
	s_and_saveexec_b32 s50, s1
	s_cbranch_execz .LBB10_83
; %bb.79:                               ;   in Loop: Header=BB10_4 Depth=1
	v_mov_b32_e32 v8, v1
	s_mov_b32 s51, 0
	s_branch .LBB10_81
.LBB10_80:                              ;   in Loop: Header=BB10_81 Depth=2
	v_add_nc_u32_e32 v8, s26, v8
	v_add_co_u32 v6, s2, v6, s40
	s_delay_alu instid0(VALU_DEP_1) | instskip(NEXT) | instid1(VALU_DEP_3)
	v_add_co_ci_u32_e64 v7, s2, s41, v7, s2
	v_cmp_le_i32_e32 vcc_lo, s19, v8
	s_waitcnt vmcnt(0)
	global_store_b64 v[9:10], v[11:12], off
	s_or_b32 s51, vcc_lo, s51
	s_delay_alu instid0(SALU_CYCLE_1)
	s_and_not1_b32 exec_lo, exec_lo, s51
	s_cbranch_execz .LBB10_83
.LBB10_81:                              ;   Parent Loop BB10_4 Depth=1
                                        ; =>  This Loop Header: Depth=2
                                        ;       Child Loop BB10_82 Depth 3
	s_delay_alu instid0(VALU_DEP_1) | instskip(SKIP_3) | instid1(VALU_DEP_2)
	v_ashrrev_i32_e32 v9, 31, v8
	v_dual_mov_b32 v14, v7 :: v_dual_mov_b32 v13, v6
	s_mov_b64 s[2:3], s[46:47]
	s_mov_b64 s[48:49], s[44:45]
	v_lshlrev_b64 v[9:10], 3, v[8:9]
	s_mov_b32 s78, s73
	s_delay_alu instid0(VALU_DEP_1) | instskip(NEXT) | instid1(VALU_DEP_2)
	v_add_co_u32 v9, vcc_lo, s76, v9
	v_add_co_ci_u32_e32 v10, vcc_lo, s77, v10, vcc_lo
	s_and_not1_b32 vcc_lo, exec_lo, s62
	global_load_b64 v[11:12], v[9:10], off
	s_cbranch_vccnz .LBB10_80
	.p2align	6
.LBB10_82:                              ;   Parent Loop BB10_4 Depth=1
                                        ;     Parent Loop BB10_81 Depth=2
                                        ; =>    This Inner Loop Header: Depth=3
	s_clause 0x1
	global_load_b64 v[15:16], v34, s[2:3]
	global_load_b64 v[35:36], v34, s[48:49]
	global_load_b64 v[37:38], v[13:14], off
	s_add_i32 s78, s78, -1
	s_add_u32 s48, s48, -8
	s_addc_u32 s49, s49, -1
	s_add_u32 s2, s2, -8
	s_addc_u32 s3, s3, -1
	s_cmp_lt_u32 s78, 3
	s_waitcnt vmcnt(2)
	v_mul_f64 v[39:40], v[11:12], v[15:16]
	s_waitcnt vmcnt(0)
	v_mul_f64 v[15:16], v[15:16], v[37:38]
	s_delay_alu instid0(VALU_DEP_2) | instskip(NEXT) | instid1(VALU_DEP_2)
	v_fma_f64 v[37:38], v[35:36], v[37:38], -v[39:40]
	v_fma_f64 v[11:12], v[11:12], v[35:36], v[15:16]
	global_store_b64 v[13:14], v[37:38], off
	v_add_co_u32 v13, vcc_lo, v13, s74
	v_add_co_ci_u32_e32 v14, vcc_lo, s75, v14, vcc_lo
	s_cbranch_scc0 .LBB10_82
	s_branch .LBB10_80
.LBB10_83:                              ;   in Loop: Header=BB10_4 Depth=1
	s_or_b32 exec_lo, exec_lo, s50
	s_mov_b32 s2, 0
.LBB10_84:                              ;   in Loop: Header=BB10_4 Depth=1
	s_delay_alu instid0(SALU_CYCLE_1)
	s_and_not1_b32 vcc_lo, exec_lo, s2
	s_cbranch_vccnz .LBB10_3
; %bb.85:                               ;   in Loop: Header=BB10_4 Depth=1
	s_and_not1_b32 vcc_lo, exec_lo, s65
	s_mov_b32 s2, -1
	s_cbranch_vccnz .LBB10_92
; %bb.86:                               ;   in Loop: Header=BB10_4 Depth=1
	s_and_saveexec_b32 s50, s1
	s_cbranch_execz .LBB10_91
; %bb.87:                               ;   in Loop: Header=BB10_4 Depth=1
	s_lshl_b64 s[2:3], s[28:29], 3
	v_mov_b32_e32 v6, v1
	s_add_u32 s51, s76, s2
	s_addc_u32 s78, s77, s3
	s_mov_b32 s79, 0
	s_branch .LBB10_89
.LBB10_88:                              ;   in Loop: Header=BB10_89 Depth=2
	v_add_nc_u32_e32 v6, s26, v6
	v_add_co_u32 v2, s2, v2, s40
	s_delay_alu instid0(VALU_DEP_1) | instskip(NEXT) | instid1(VALU_DEP_3)
	v_add_co_ci_u32_e64 v3, s2, s41, v3, s2
	v_cmp_le_i32_e32 vcc_lo, s19, v6
	s_waitcnt vmcnt(0)
	global_store_b64 v[7:8], v[9:10], off
	s_or_b32 s79, vcc_lo, s79
	s_delay_alu instid0(SALU_CYCLE_1)
	s_and_not1_b32 exec_lo, exec_lo, s79
	s_cbranch_execz .LBB10_91
.LBB10_89:                              ;   Parent Loop BB10_4 Depth=1
                                        ; =>  This Loop Header: Depth=2
                                        ;       Child Loop BB10_90 Depth 3
	v_ashrrev_i32_e32 v7, 31, v6
	v_dual_mov_b32 v12, v3 :: v_dual_mov_b32 v11, v2
	s_mov_b64 s[2:3], s[42:43]
	s_mov_b64 s[48:49], s[20:21]
	s_delay_alu instid0(VALU_DEP_2) | instskip(SKIP_1) | instid1(VALU_DEP_1)
	v_lshlrev_b64 v[7:8], 3, v[6:7]
	s_mov_b32 s80, s60
	v_add_co_u32 v7, vcc_lo, s51, v7
	s_delay_alu instid0(VALU_DEP_2)
	v_add_co_ci_u32_e32 v8, vcc_lo, s78, v8, vcc_lo
	s_and_not1_b32 vcc_lo, exec_lo, s62
	global_load_b64 v[9:10], v[7:8], off
	s_cbranch_vccnz .LBB10_88
	.p2align	6
.LBB10_90:                              ;   Parent Loop BB10_4 Depth=1
                                        ;     Parent Loop BB10_89 Depth=2
                                        ; =>    This Inner Loop Header: Depth=3
	global_load_b64 v[13:14], v[11:12], off
	s_clause 0x1
	global_load_b64 v[15:16], v34, s[48:49]
	global_load_b64 v[35:36], v34, s[2:3]
	s_add_i32 s80, s80, -1
	s_add_u32 s48, s48, 8
	s_addc_u32 s49, s49, 0
	s_add_u32 s2, s2, 8
	s_addc_u32 s3, s3, 0
	s_cmp_eq_u32 s80, 0
	s_waitcnt vmcnt(1)
	v_mul_f64 v[37:38], v[15:16], v[13:14]
	s_waitcnt vmcnt(0)
	v_mul_f64 v[13:14], v[35:36], v[13:14]
	s_delay_alu instid0(VALU_DEP_2) | instskip(NEXT) | instid1(VALU_DEP_2)
	v_fma_f64 v[35:36], v[9:10], v[35:36], v[37:38]
	v_fma_f64 v[9:10], v[9:10], v[15:16], -v[13:14]
	global_store_b64 v[11:12], v[35:36], off
	v_add_co_u32 v11, vcc_lo, v11, s38
	v_add_co_ci_u32_e32 v12, vcc_lo, s39, v12, vcc_lo
	s_cbranch_scc0 .LBB10_90
	s_branch .LBB10_88
.LBB10_91:                              ;   in Loop: Header=BB10_4 Depth=1
	s_or_b32 exec_lo, exec_lo, s50
	s_mov_b32 s2, 0
.LBB10_92:                              ;   in Loop: Header=BB10_4 Depth=1
	s_delay_alu instid0(SALU_CYCLE_1)
	s_and_not1_b32 vcc_lo, exec_lo, s2
	s_cbranch_vccnz .LBB10_3
; %bb.93:                               ;   in Loop: Header=BB10_4 Depth=1
	s_and_saveexec_b32 s42, s66
	s_cbranch_execz .LBB10_2
; %bb.94:                               ;   in Loop: Header=BB10_4 Depth=1
	s_lshl_b64 s[2:3], s[28:29], 3
	v_mov_b32_e32 v2, v1
	s_add_u32 s43, s76, s2
	s_addc_u32 s48, s77, s3
	s_mov_b32 s49, 0
	s_branch .LBB10_96
.LBB10_95:                              ;   in Loop: Header=BB10_96 Depth=2
	v_add_nc_u32_e32 v2, s26, v2
	v_add_co_u32 v4, s2, v4, s40
	s_delay_alu instid0(VALU_DEP_1) | instskip(NEXT) | instid1(VALU_DEP_3)
	v_add_co_ci_u32_e64 v5, s2, s41, v5, s2
	v_cmp_le_i32_e32 vcc_lo, s19, v2
	s_waitcnt vmcnt(0)
	global_store_b64 v[6:7], v[8:9], off
	s_or_b32 s49, vcc_lo, s49
	s_delay_alu instid0(SALU_CYCLE_1)
	s_and_not1_b32 exec_lo, exec_lo, s49
	s_cbranch_execz .LBB10_2
.LBB10_96:                              ;   Parent Loop BB10_4 Depth=1
                                        ; =>  This Loop Header: Depth=2
                                        ;       Child Loop BB10_97 Depth 3
	v_ashrrev_i32_e32 v3, 31, v2
	v_dual_mov_b32 v11, v5 :: v_dual_mov_b32 v10, v4
	s_mov_b64 s[2:3], s[46:47]
	s_mov_b64 s[20:21], s[44:45]
	s_delay_alu instid0(VALU_DEP_2) | instskip(SKIP_1) | instid1(VALU_DEP_1)
	v_lshlrev_b64 v[6:7], 3, v[2:3]
	s_mov_b32 s50, s60
	v_add_co_u32 v6, vcc_lo, s43, v6
	s_delay_alu instid0(VALU_DEP_2)
	v_add_co_ci_u32_e32 v7, vcc_lo, s48, v7, vcc_lo
	s_and_not1_b32 vcc_lo, exec_lo, s62
	global_load_b64 v[8:9], v[6:7], off
	s_cbranch_vccnz .LBB10_95
	.p2align	6
.LBB10_97:                              ;   Parent Loop BB10_4 Depth=1
                                        ;     Parent Loop BB10_96 Depth=2
                                        ; =>    This Inner Loop Header: Depth=3
	global_load_b64 v[12:13], v[10:11], off
	s_clause 0x1
	global_load_b64 v[14:15], v34, s[20:21]
	global_load_b64 v[35:36], v34, s[2:3]
	s_add_i32 s50, s50, -1
	s_add_u32 s20, s20, -8
	s_addc_u32 s21, s21, -1
	s_add_u32 s2, s2, -8
	s_addc_u32 s3, s3, -1
	s_cmp_eq_u32 s50, 0
	s_waitcnt vmcnt(1)
	v_mul_f64 v[37:38], v[14:15], v[12:13]
	s_waitcnt vmcnt(0)
	v_mul_f64 v[12:13], v[35:36], v[12:13]
	s_delay_alu instid0(VALU_DEP_2) | instskip(NEXT) | instid1(VALU_DEP_2)
	v_fma_f64 v[35:36], v[8:9], v[35:36], v[37:38]
	v_fma_f64 v[8:9], v[8:9], v[14:15], -v[12:13]
	global_store_b64 v[10:11], v[35:36], off
	v_add_co_u32 v10, vcc_lo, v10, s74
	v_add_co_ci_u32_e32 v11, vcc_lo, s75, v11, vcc_lo
	s_cbranch_scc0 .LBB10_97
	s_branch .LBB10_95
.LBB10_98:
	s_nop 0
	s_sendmsg sendmsg(MSG_DEALLOC_VGPRS)
	s_endpgm
	.section	.rodata,"a",@progbits
	.p2align	6, 0x0
	.amdhsa_kernel _ZN9rocsolver6v33100L11lasr_kernelIddPdiEEv13rocblas_side_14rocblas_pivot_15rocblas_direct_T2_S6_PT0_lS8_lT1_lS6_lS6_
		.amdhsa_group_segment_fixed_size 0
		.amdhsa_private_segment_fixed_size 0
		.amdhsa_kernarg_size 352
		.amdhsa_user_sgpr_count 14
		.amdhsa_user_sgpr_dispatch_ptr 0
		.amdhsa_user_sgpr_queue_ptr 0
		.amdhsa_user_sgpr_kernarg_segment_ptr 1
		.amdhsa_user_sgpr_dispatch_id 0
		.amdhsa_user_sgpr_private_segment_size 0
		.amdhsa_wavefront_size32 1
		.amdhsa_uses_dynamic_stack 0
		.amdhsa_enable_private_segment 0
		.amdhsa_system_sgpr_workgroup_id_x 1
		.amdhsa_system_sgpr_workgroup_id_y 0
		.amdhsa_system_sgpr_workgroup_id_z 1
		.amdhsa_system_sgpr_workgroup_info 0
		.amdhsa_system_vgpr_workitem_id 0
		.amdhsa_next_free_vgpr 43
		.amdhsa_next_free_sgpr 87
		.amdhsa_reserve_vcc 1
		.amdhsa_float_round_mode_32 0
		.amdhsa_float_round_mode_16_64 0
		.amdhsa_float_denorm_mode_32 3
		.amdhsa_float_denorm_mode_16_64 3
		.amdhsa_dx10_clamp 1
		.amdhsa_ieee_mode 1
		.amdhsa_fp16_overflow 0
		.amdhsa_workgroup_processor_mode 1
		.amdhsa_memory_ordered 1
		.amdhsa_forward_progress 0
		.amdhsa_shared_vgpr_count 0
		.amdhsa_exception_fp_ieee_invalid_op 0
		.amdhsa_exception_fp_denorm_src 0
		.amdhsa_exception_fp_ieee_div_zero 0
		.amdhsa_exception_fp_ieee_overflow 0
		.amdhsa_exception_fp_ieee_underflow 0
		.amdhsa_exception_fp_ieee_inexact 0
		.amdhsa_exception_int_div_zero 0
	.end_amdhsa_kernel
	.section	.text._ZN9rocsolver6v33100L11lasr_kernelIddPdiEEv13rocblas_side_14rocblas_pivot_15rocblas_direct_T2_S6_PT0_lS8_lT1_lS6_lS6_,"axG",@progbits,_ZN9rocsolver6v33100L11lasr_kernelIddPdiEEv13rocblas_side_14rocblas_pivot_15rocblas_direct_T2_S6_PT0_lS8_lT1_lS6_lS6_,comdat
.Lfunc_end10:
	.size	_ZN9rocsolver6v33100L11lasr_kernelIddPdiEEv13rocblas_side_14rocblas_pivot_15rocblas_direct_T2_S6_PT0_lS8_lT1_lS6_lS6_, .Lfunc_end10-_ZN9rocsolver6v33100L11lasr_kernelIddPdiEEv13rocblas_side_14rocblas_pivot_15rocblas_direct_T2_S6_PT0_lS8_lT1_lS6_lS6_
                                        ; -- End function
	.section	.AMDGPU.csdata,"",@progbits
; Kernel info:
; codeLenInByte = 4836
; NumSgprs: 89
; NumVgprs: 43
; ScratchSize: 0
; MemoryBound: 0
; FloatMode: 240
; IeeeMode: 1
; LDSByteSize: 0 bytes/workgroup (compile time only)
; SGPRBlocks: 11
; VGPRBlocks: 5
; NumSGPRsForWavesPerEU: 89
; NumVGPRsForWavesPerEU: 43
; Occupancy: 16
; WaveLimiterHint : 0
; COMPUTE_PGM_RSRC2:SCRATCH_EN: 0
; COMPUTE_PGM_RSRC2:USER_SGPR: 14
; COMPUTE_PGM_RSRC2:TRAP_HANDLER: 0
; COMPUTE_PGM_RSRC2:TGID_X_EN: 1
; COMPUTE_PGM_RSRC2:TGID_Y_EN: 0
; COMPUTE_PGM_RSRC2:TGID_Z_EN: 1
; COMPUTE_PGM_RSRC2:TIDIG_COMP_CNT: 0
	.section	.text._ZN9rocsolver6v33100L11swap_kernelIdiEEvT0_PT_S2_S4_S2_,"axG",@progbits,_ZN9rocsolver6v33100L11swap_kernelIdiEEvT0_PT_S2_S4_S2_,comdat
	.globl	_ZN9rocsolver6v33100L11swap_kernelIdiEEvT0_PT_S2_S4_S2_ ; -- Begin function _ZN9rocsolver6v33100L11swap_kernelIdiEEvT0_PT_S2_S4_S2_
	.p2align	8
	.type	_ZN9rocsolver6v33100L11swap_kernelIdiEEvT0_PT_S2_S4_S2_,@function
_ZN9rocsolver6v33100L11swap_kernelIdiEEvT0_PT_S2_S4_S2_: ; @_ZN9rocsolver6v33100L11swap_kernelIdiEEvT0_PT_S2_S4_S2_
; %bb.0:
	s_load_b32 s12, s[0:1], 0x0
	s_waitcnt lgkmcnt(0)
	s_cmp_lt_i32 s12, 1
	s_cbranch_scc1 .LBB11_10
; %bb.1:
	s_clause 0x5
	s_load_b32 s6, s[0:1], 0x34
	s_load_b32 s8, s[0:1], 0x10
	s_load_b32 s9, s[0:1], 0x20
	s_load_b32 s7, s[0:1], 0x28
	s_load_b64 s[2:3], s[0:1], 0x8
	s_load_b64 s[4:5], s[0:1], 0x18
	s_waitcnt lgkmcnt(0)
	s_and_b32 s0, s6, 0xffff
	s_cmp_eq_u32 s8, 1
	v_mad_u64_u32 v[1:2], null, s15, s0, v[0:1]
	s_cselect_b32 s1, -1, 0
	s_cmp_eq_u32 s9, 1
	s_mul_i32 s6, s7, s0
	s_cselect_b32 s10, -1, 0
	s_delay_alu instid0(SALU_CYCLE_1) | instskip(NEXT) | instid1(VALU_DEP_1)
	s_and_b32 s1, s1, s10
	v_cmp_gt_i32_e64 s0, s12, v1
	s_and_b32 vcc_lo, exec_lo, s1
	s_mov_b32 s1, -1
	s_cbranch_vccnz .LBB11_6
; %bb.2:
	s_delay_alu instid0(VALU_DEP_1)
	s_and_saveexec_b32 s7, s0
	s_cbranch_execz .LBB11_5
; %bb.3:
	v_mad_i64_i32 v[2:3], null, s9, v1, 0
	v_mad_i64_i32 v[4:5], null, s8, v1, 0
	v_mov_b32_e32 v0, v1
	s_mul_hi_i32 s11, s9, s6
	s_mul_i32 s10, s9, s6
	s_mul_hi_i32 s15, s8, s6
	s_delay_alu instid0(VALU_DEP_3) | instskip(SKIP_1) | instid1(VALU_DEP_3)
	v_lshlrev_b64 v[2:3], 3, v[2:3]
	s_mul_i32 s14, s8, s6
	v_lshlrev_b64 v[4:5], 3, v[4:5]
	s_lshl_b64 s[8:9], s[10:11], 3
	s_lshl_b64 s[10:11], s[14:15], 3
	s_mov_b32 s13, 0
	v_add_co_u32 v2, vcc_lo, s4, v2
	v_add_co_ci_u32_e32 v3, vcc_lo, s5, v3, vcc_lo
	v_add_co_u32 v4, vcc_lo, s2, v4
	v_add_co_ci_u32_e32 v5, vcc_lo, s3, v5, vcc_lo
	.p2align	6
.LBB11_4:                               ; =>This Inner Loop Header: Depth=1
	global_load_b64 v[6:7], v[4:5], off
	global_load_b64 v[8:9], v[2:3], off
	v_add_nc_u32_e32 v0, s6, v0
	s_waitcnt vmcnt(1)
	global_store_b64 v[2:3], v[6:7], off
	s_waitcnt vmcnt(0)
	global_store_b64 v[4:5], v[8:9], off
	v_add_co_u32 v2, s1, v2, s8
	s_delay_alu instid0(VALU_DEP_1) | instskip(SKIP_2) | instid1(VALU_DEP_1)
	v_add_co_ci_u32_e64 v3, s1, s9, v3, s1
	v_cmp_le_i32_e32 vcc_lo, s12, v0
	v_add_co_u32 v4, s1, v4, s10
	v_add_co_ci_u32_e64 v5, s1, s11, v5, s1
	s_or_b32 s13, vcc_lo, s13
	s_delay_alu instid0(SALU_CYCLE_1)
	s_and_not1_b32 exec_lo, exec_lo, s13
	s_cbranch_execnz .LBB11_4
.LBB11_5:
	s_or_b32 exec_lo, exec_lo, s7
	s_mov_b32 s1, 0
.LBB11_6:
	s_delay_alu instid0(SALU_CYCLE_1)
	s_and_not1_b32 vcc_lo, exec_lo, s1
	s_cbranch_vccnz .LBB11_10
; %bb.7:
	s_and_saveexec_b32 s1, s0
	s_cbranch_execz .LBB11_10
; %bb.8:
	v_ashrrev_i32_e32 v2, 31, v1
	s_ashr_i32 s7, s6, 31
	s_mov_b32 s1, 0
	s_lshl_b64 s[8:9], s[6:7], 3
	s_delay_alu instid0(VALU_DEP_1)
	v_lshlrev_b64 v[2:3], 3, v[1:2]
	.p2align	6
.LBB11_9:                               ; =>This Inner Loop Header: Depth=1
	s_delay_alu instid0(VALU_DEP_1) | instskip(NEXT) | instid1(VALU_DEP_2)
	v_add_co_u32 v4, vcc_lo, s2, v2
	v_add_co_ci_u32_e32 v5, vcc_lo, s3, v3, vcc_lo
	v_add_co_u32 v6, vcc_lo, s4, v2
	v_add_co_ci_u32_e32 v7, vcc_lo, s5, v3, vcc_lo
	v_add_nc_u32_e32 v1, s6, v1
	global_load_b64 v[8:9], v[4:5], off
	global_load_b64 v[10:11], v[6:7], off
	v_add_co_u32 v2, s0, v2, s8
	v_cmp_le_i32_e32 vcc_lo, s12, v1
	v_add_co_ci_u32_e64 v3, s0, s9, v3, s0
	s_waitcnt vmcnt(1)
	global_store_b64 v[6:7], v[8:9], off
	s_waitcnt vmcnt(0)
	global_store_b64 v[4:5], v[10:11], off
	s_or_b32 s1, vcc_lo, s1
	s_delay_alu instid0(SALU_CYCLE_1)
	s_and_not1_b32 exec_lo, exec_lo, s1
	s_cbranch_execnz .LBB11_9
.LBB11_10:
	s_nop 0
	s_sendmsg sendmsg(MSG_DEALLOC_VGPRS)
	s_endpgm
	.section	.rodata,"a",@progbits
	.p2align	6, 0x0
	.amdhsa_kernel _ZN9rocsolver6v33100L11swap_kernelIdiEEvT0_PT_S2_S4_S2_
		.amdhsa_group_segment_fixed_size 0
		.amdhsa_private_segment_fixed_size 0
		.amdhsa_kernarg_size 296
		.amdhsa_user_sgpr_count 15
		.amdhsa_user_sgpr_dispatch_ptr 0
		.amdhsa_user_sgpr_queue_ptr 0
		.amdhsa_user_sgpr_kernarg_segment_ptr 1
		.amdhsa_user_sgpr_dispatch_id 0
		.amdhsa_user_sgpr_private_segment_size 0
		.amdhsa_wavefront_size32 1
		.amdhsa_uses_dynamic_stack 0
		.amdhsa_enable_private_segment 0
		.amdhsa_system_sgpr_workgroup_id_x 1
		.amdhsa_system_sgpr_workgroup_id_y 0
		.amdhsa_system_sgpr_workgroup_id_z 0
		.amdhsa_system_sgpr_workgroup_info 0
		.amdhsa_system_vgpr_workitem_id 0
		.amdhsa_next_free_vgpr 12
		.amdhsa_next_free_sgpr 16
		.amdhsa_reserve_vcc 1
		.amdhsa_float_round_mode_32 0
		.amdhsa_float_round_mode_16_64 0
		.amdhsa_float_denorm_mode_32 3
		.amdhsa_float_denorm_mode_16_64 3
		.amdhsa_dx10_clamp 1
		.amdhsa_ieee_mode 1
		.amdhsa_fp16_overflow 0
		.amdhsa_workgroup_processor_mode 1
		.amdhsa_memory_ordered 1
		.amdhsa_forward_progress 0
		.amdhsa_shared_vgpr_count 0
		.amdhsa_exception_fp_ieee_invalid_op 0
		.amdhsa_exception_fp_denorm_src 0
		.amdhsa_exception_fp_ieee_div_zero 0
		.amdhsa_exception_fp_ieee_overflow 0
		.amdhsa_exception_fp_ieee_underflow 0
		.amdhsa_exception_fp_ieee_inexact 0
		.amdhsa_exception_int_div_zero 0
	.end_amdhsa_kernel
	.section	.text._ZN9rocsolver6v33100L11swap_kernelIdiEEvT0_PT_S2_S4_S2_,"axG",@progbits,_ZN9rocsolver6v33100L11swap_kernelIdiEEvT0_PT_S2_S4_S2_,comdat
.Lfunc_end11:
	.size	_ZN9rocsolver6v33100L11swap_kernelIdiEEvT0_PT_S2_S4_S2_, .Lfunc_end11-_ZN9rocsolver6v33100L11swap_kernelIdiEEvT0_PT_S2_S4_S2_
                                        ; -- End function
	.section	.AMDGPU.csdata,"",@progbits
; Kernel info:
; codeLenInByte = 520
; NumSgprs: 18
; NumVgprs: 12
; ScratchSize: 0
; MemoryBound: 0
; FloatMode: 240
; IeeeMode: 1
; LDSByteSize: 0 bytes/workgroup (compile time only)
; SGPRBlocks: 2
; VGPRBlocks: 1
; NumSGPRsForWavesPerEU: 18
; NumVGPRsForWavesPerEU: 12
; Occupancy: 16
; WaveLimiterHint : 0
; COMPUTE_PGM_RSRC2:SCRATCH_EN: 0
; COMPUTE_PGM_RSRC2:USER_SGPR: 15
; COMPUTE_PGM_RSRC2:TRAP_HANDLER: 0
; COMPUTE_PGM_RSRC2:TGID_X_EN: 1
; COMPUTE_PGM_RSRC2:TGID_Y_EN: 0
; COMPUTE_PGM_RSRC2:TGID_Z_EN: 0
; COMPUTE_PGM_RSRC2:TIDIG_COMP_CNT: 0
	.section	.text._ZN9rocsolver6v33100L12steqr_kernelIddPdEEviPT0_lS4_lT1_iilPiS4_iS3_S3_S3_,"axG",@progbits,_ZN9rocsolver6v33100L12steqr_kernelIddPdEEviPT0_lS4_lT1_iilPiS4_iS3_S3_S3_,comdat
	.globl	_ZN9rocsolver6v33100L12steqr_kernelIddPdEEviPT0_lS4_lT1_iilPiS4_iS3_S3_S3_ ; -- Begin function _ZN9rocsolver6v33100L12steqr_kernelIddPdEEviPT0_lS4_lT1_iilPiS4_iS3_S3_S3_
	.p2align	8
	.type	_ZN9rocsolver6v33100L12steqr_kernelIddPdEEviPT0_lS4_lT1_iilPiS4_iS3_S3_S3_,@function
_ZN9rocsolver6v33100L12steqr_kernelIddPdEEviPT0_lS4_lT1_iilPiS4_iS3_S3_S3_: ; @_ZN9rocsolver6v33100L12steqr_kernelIddPdEEviPT0_lS4_lT1_iilPiS4_iS3_S3_S3_
; %bb.0:
	s_clause 0x1
	s_load_b32 s2, s[0:1], 0x7c
	s_load_b32 s3, s[0:1], 0x70
	s_mov_b32 s26, s15
	s_waitcnt lgkmcnt(0)
	s_and_b32 s20, s2, 0xffff
	s_delay_alu instid0(SALU_CYCLE_1) | instskip(NEXT) | instid1(VALU_DEP_1)
	v_mad_u64_u32 v[4:5], null, s14, s20, v[0:1]
	v_cmp_eq_u32_e64 s2, 0, v4
	s_delay_alu instid0(VALU_DEP_1)
	s_and_saveexec_b32 s4, s2
	s_cbranch_execz .LBB12_2
; %bb.1:
	v_mov_b32_e32 v0, 0
	ds_store_2addr_b32 v0, v0, v0 offset0:6 offset1:9
.LBB12_2:
	s_or_b32 exec_lo, exec_lo, s4
	s_load_b256 s[12:19], s[0:1], 0x8
	v_mov_b32_e32 v6, 0
	s_load_b32 s24, s[0:1], 0x0
	s_waitcnt lgkmcnt(0)
	s_barrier
	buffer_gl0_inv
	ds_load_2addr_b32 v[0:1], v6 offset0:6 offset1:9
	s_clause 0x2
	s_load_b32 s33, s[0:1], 0x50
	s_load_b256 s[4:11], s[0:1], 0x28
	s_load_b64 s[50:51], s[0:1], 0x48
	s_mul_i32 s28, s3, s20
	s_ashr_i32 s27, s26, 31
	s_mul_i32 s3, s26, s15
	s_mul_hi_u32 s15, s26, s14
	s_mul_i32 s20, s27, s14
	s_add_i32 s3, s15, s3
	s_mul_i32 s14, s26, s14
	s_add_i32 s15, s3, s20
	s_mul_i32 s21, s26, s19
	s_mul_hi_u32 s22, s26, s18
	s_mul_i32 s23, s27, s18
	s_mul_i32 s36, s26, s18
	s_lshl_b64 s[18:19], s[14:15], 3
	s_waitcnt lgkmcnt(0)
	v_cmp_gt_i32_e32 vcc_lo, s24, v0
	v_cmp_gt_i32_e64 s3, s33, v1
	s_add_u32 s14, s12, s18
	s_addc_u32 s15, s13, s19
	s_add_i32 s20, s22, s21
	s_mul_i32 s9, s26, s9
	s_add_i32 s37, s20, s23
	s_mul_hi_u32 s20, s26, s8
	v_readfirstlane_b32 s58, v0
	s_and_b32 s3, vcc_lo, s3
	s_add_i32 s9, s20, s9
	s_mul_i32 s20, s27, s8
	s_ashr_i32 s31, s6, 31
	s_mov_b32 s30, s6
	s_add_i32 s9, s9, s20
	s_mul_i32 s8, s26, s8
	s_and_not1_b32 vcc_lo, exec_lo, s3
	s_add_i32 s34, s24, -1
	s_cbranch_vccnz .LBB12_232
; %bb.3:
	s_load_b128 s[20:23], s[0:1], 0x58
	s_lshl_b64 s[38:39], s[36:37], 3
	s_lshl_b32 s3, s24, 1
	s_add_u32 s6, s16, s38
	s_addc_u32 s70, s17, s39
	s_lshl_b64 s[38:39], s[8:9], 3
	s_lshl_b64 s[42:43], s[30:31], 3
	s_mul_hi_i32 s41, s3, s26
	s_mul_i32 s40, s3, s26
	s_add_u32 s3, s38, s42
	s_addc_u32 s25, s39, s43
	s_load_b64 s[38:39], s[0:1], 0x68
	s_add_u32 s71, s4, s3
	s_addc_u32 s72, s5, s25
	s_lshl_b64 s[52:53], s[40:41], 3
	v_ashrrev_i32_e32 v5, 31, v4
	s_add_u32 s73, s50, s52
	s_addc_u32 s74, s51, s53
	s_ashr_i32 s25, s24, 31
	s_ashr_i32 s41, s7, 31
	s_waitcnt lgkmcnt(0)
	v_mul_f64 v[8:9], s[20:21], s[20:21]
	s_add_u32 s42, s6, -8
	s_addc_u32 s43, s70, -1
	s_add_u32 s44, s73, -8
	s_addc_u32 s45, s74, -1
	s_add_u32 s75, s12, s18
	s_addc_u32 s76, s13, s19
	s_add_u32 s77, s75, 8
	s_addc_u32 s78, s76, 0
	s_ashr_i32 s29, s28, 31
	s_lshl_b64 s[46:47], s[24:25], 3
	s_lshl_b64 s[48:49], s[28:29], 3
	s_add_u32 s1, s52, s46
	s_addc_u32 s3, s53, s47
	v_lshlrev_b64 v[0:1], 3, v[4:5]
	s_add_u32 s1, s1, s50
	s_addc_u32 s3, s3, s51
	s_add_u32 s50, s1, -16
	s_mov_b32 s40, s7
	s_addc_u32 s51, s3, -1
	s_add_u32 s25, s46, -8
	s_addc_u32 s29, s47, -1
	s_lshl_b64 s[52:53], s[40:41], 3
	v_add_co_u32 v5, vcc_lo, s71, v0
	v_cmp_gt_i32_e64 s0, s24, v4
	v_add_co_ci_u32_e32 v55, vcc_lo, s72, v1, vcc_lo
	s_sub_u32 s79, 0, s52
	s_subb_u32 s80, 0, s53
	s_mov_b32 s54, 0x667f3bcd
	s_add_u32 s81, s75, -8
	s_mov_b32 s55, 0x3ff6a09e
	s_addc_u32 s82, s76, -1
	s_mov_b32 s57, 0
                                        ; implicit-def: $vgpr14_vgpr15
                                        ; implicit-def: $vgpr16_vgpr17
                                        ; implicit-def: $vgpr18_vgpr19
                                        ; implicit-def: $vgpr10_vgpr11
                                        ; implicit-def: $vgpr56
                                        ; implicit-def: $vgpr12_vgpr13
                                        ; implicit-def: $vgpr57
                                        ; implicit-def: $vgpr20_vgpr21
                                        ; implicit-def: $vgpr22_vgpr23
	s_branch .LBB12_7
.LBB12_4:                               ;   in Loop: Header=BB12_7 Depth=1
	s_or_b32 exec_lo, exec_lo, s3
.LBB12_5:                               ;   in Loop: Header=BB12_7 Depth=1
	s_waitcnt_vscnt null, 0x0
	s_barrier
	buffer_gl0_inv
.LBB12_6:                               ;   in Loop: Header=BB12_7 Depth=1
	ds_load_2addr_b32 v[0:1], v6 offset0:6 offset1:9
	v_dual_mov_b32 v57, v25 :: v_dual_mov_b32 v20, v28
	v_dual_mov_b32 v21, v29 :: v_dual_mov_b32 v22, v30
	v_mov_b32_e32 v23, v31
	s_waitcnt lgkmcnt(0)
	v_cmp_gt_i32_e32 vcc_lo, s24, v0
	v_cmp_gt_i32_e64 s1, s33, v1
	v_readfirstlane_b32 s58, v0
	s_delay_alu instid0(VALU_DEP_2) | instskip(NEXT) | instid1(SALU_CYCLE_1)
	s_and_b32 s1, vcc_lo, s1
	s_and_not1_b32 vcc_lo, exec_lo, s1
	s_cbranch_vccnz .LBB12_232
.LBB12_7:                               ; =>This Loop Header: Depth=1
                                        ;     Child Loop BB12_15 Depth 2
                                        ;     Child Loop BB12_28 Depth 2
                                        ;     Child Loop BB12_38 Depth 2
                                        ;     Child Loop BB12_46 Depth 2
                                        ;     Child Loop BB12_53 Depth 2
                                        ;       Child Loop BB12_61 Depth 3
                                        ;       Child Loop BB12_80 Depth 3
	;; [unrolled: 1-line block ×3, first 2 shown]
                                        ;         Child Loop BB12_131 Depth 4
                                        ;     Child Loop BB12_137 Depth 2
                                        ;       Child Loop BB12_146 Depth 3
                                        ;       Child Loop BB12_165 Depth 3
	;; [unrolled: 1-line block ×3, first 2 shown]
                                        ;         Child Loop BB12_216 Depth 4
                                        ;     Child Loop BB12_224 Depth 2
                                        ;     Child Loop BB12_231 Depth 2
	s_and_saveexec_b32 s3, s2
	s_cbranch_execz .LBB12_31
; %bb.8:                                ;   in Loop: Header=BB12_7 Depth=1
	s_cmp_lt_i32 s58, 1
	s_cbranch_scc1 .LBB12_10
; %bb.9:                                ;   in Loop: Header=BB12_7 Depth=1
	s_mov_b32 s59, s57
	v_mov_b32_e32 v7, v6
	s_lshl_b64 s[60:61], s[58:59], 3
	s_delay_alu instid0(SALU_CYCLE_1)
	s_add_u32 s60, s42, s60
	s_addc_u32 s61, s43, s61
	global_store_b64 v6, v[6:7], s[60:61]
.LBB12_10:                              ;   in Loop: Header=BB12_7 Depth=1
	s_mov_b32 s35, -1
	s_mov_b32 s1, 0
	s_cmp_lt_i32 s58, s34
	s_mov_b32 s56, 0
	s_cbranch_scc1 .LBB12_12
; %bb.11:                               ;   in Loop: Header=BB12_7 Depth=1
	s_ashr_i32 s59, s58, 31
	s_mov_b32 s35, 0
	s_mov_b32 s56, -1
.LBB12_12:                              ;   in Loop: Header=BB12_7 Depth=1
	s_and_not1_b32 vcc_lo, exec_lo, s35
	s_cbranch_vccnz .LBB12_17
; %bb.13:                               ;   in Loop: Header=BB12_7 Depth=1
	s_ashr_i32 s59, s58, 31
	s_delay_alu instid0(SALU_CYCLE_1)
	s_lshl_b64 s[60:61], s[58:59], 3
	s_mov_b64 s[62:63], s[58:59]
	s_add_u32 s66, s6, s60
	s_addc_u32 s67, s70, s61
	s_add_u32 s60, s77, s60
	s_addc_u32 s61, s78, s61
	s_branch .LBB12_15
.LBB12_14:                              ;   in Loop: Header=BB12_15 Depth=2
	s_and_not1_b32 vcc_lo, exec_lo, s35
	s_cbranch_vccz .LBB12_18
.LBB12_15:                              ;   Parent Loop BB12_7 Depth=1
                                        ; =>  This Inner Loop Header: Depth=2
	s_clause 0x1
	global_load_b128 v[0:3], v6, s[60:61] offset:-8
	global_load_b64 v[30:31], v6, s[66:67]
	s_mov_b64 s[64:65], s[66:67]
	s_mov_b64 s[68:69], s[62:63]
                                        ; implicit-def: $sgpr62_sgpr63
                                        ; implicit-def: $sgpr66_sgpr67
	s_waitcnt vmcnt(1)
	v_cmp_gt_f64_e64 s1, 0x10000000, |v[0:1]|
	v_cmp_gt_f64_e64 s35, 0x10000000, |v[2:3]|
	s_delay_alu instid0(VALU_DEP_2) | instskip(NEXT) | instid1(VALU_DEP_2)
	v_cndmask_b32_e64 v7, 0, 1, s1
	v_cndmask_b32_e64 v14, 0, 1, s35
	s_and_b32 s1, s1, exec_lo
	s_cselect_b32 s1, 0xffffff80, 0
	s_and_b32 s35, s35, exec_lo
	v_lshlrev_b32_e32 v7, 8, v7
	s_cselect_b32 s35, 0xffffff80, 0
	s_delay_alu instid0(VALU_DEP_1) | instskip(NEXT) | instid1(VALU_DEP_1)
	v_ldexp_f64 v[0:1], |v[0:1]|, v7
	v_cmp_class_f64_e64 vcc_lo, v[0:1], 0x260
	v_lshlrev_b32_e32 v14, 8, v14
	s_delay_alu instid0(VALU_DEP_1) | instskip(SKIP_1) | instid1(VALU_DEP_1)
	v_ldexp_f64 v[2:3], |v[2:3]|, v14
	v_rsq_f64_e32 v[14:15], v[0:1]
	v_rsq_f64_e32 v[16:17], v[2:3]
	s_waitcnt_depctr 0xfff
	v_mul_f64 v[18:19], v[0:1], v[14:15]
	v_mul_f64 v[14:15], v[14:15], 0.5
	v_mul_f64 v[24:25], v[2:3], v[16:17]
	v_mul_f64 v[16:17], v[16:17], 0.5
	s_delay_alu instid0(VALU_DEP_3) | instskip(NEXT) | instid1(VALU_DEP_2)
	v_fma_f64 v[26:27], -v[14:15], v[18:19], 0.5
	v_fma_f64 v[28:29], -v[16:17], v[24:25], 0.5
	s_delay_alu instid0(VALU_DEP_2) | instskip(SKIP_1) | instid1(VALU_DEP_3)
	v_fma_f64 v[18:19], v[18:19], v[26:27], v[18:19]
	v_fma_f64 v[14:15], v[14:15], v[26:27], v[14:15]
	;; [unrolled: 1-line block ×3, first 2 shown]
	s_delay_alu instid0(VALU_DEP_3) | instskip(SKIP_1) | instid1(VALU_DEP_3)
	v_fma_f64 v[26:27], -v[18:19], v[18:19], v[0:1]
	v_fma_f64 v[16:17], v[16:17], v[28:29], v[16:17]
	v_fma_f64 v[28:29], -v[24:25], v[24:25], v[2:3]
	s_delay_alu instid0(VALU_DEP_3) | instskip(NEXT) | instid1(VALU_DEP_2)
	v_fma_f64 v[18:19], v[26:27], v[14:15], v[18:19]
	v_fma_f64 v[24:25], v[28:29], v[16:17], v[24:25]
	s_delay_alu instid0(VALU_DEP_2) | instskip(NEXT) | instid1(VALU_DEP_2)
	v_fma_f64 v[26:27], -v[18:19], v[18:19], v[0:1]
	v_fma_f64 v[28:29], -v[24:25], v[24:25], v[2:3]
	s_delay_alu instid0(VALU_DEP_2) | instskip(NEXT) | instid1(VALU_DEP_2)
	v_fma_f64 v[14:15], v[26:27], v[14:15], v[18:19]
	v_fma_f64 v[16:17], v[28:29], v[16:17], v[24:25]
	s_delay_alu instid0(VALU_DEP_2) | instskip(SKIP_1) | instid1(VALU_DEP_3)
	v_ldexp_f64 v[14:15], v[14:15], s1
	v_cmp_class_f64_e64 s1, v[2:3], 0x260
	v_ldexp_f64 v[16:17], v[16:17], s35
	s_delay_alu instid0(VALU_DEP_3) | instskip(NEXT) | instid1(VALU_DEP_2)
	v_dual_cndmask_b32 v1, v15, v1 :: v_dual_cndmask_b32 v0, v14, v0
	v_cndmask_b32_e64 v3, v17, v3, s1
	s_delay_alu instid0(VALU_DEP_3) | instskip(SKIP_1) | instid1(VALU_DEP_1)
	v_cndmask_b32_e64 v2, v16, v2, s1
	s_mov_b32 s1, -1
	v_mul_f64 v[0:1], v[0:1], v[2:3]
	s_delay_alu instid0(VALU_DEP_1) | instskip(SKIP_1) | instid1(VALU_DEP_1)
	v_mul_f64 v[0:1], v[0:1], s[20:21]
	s_waitcnt vmcnt(0)
	v_cmp_nle_f64_e64 s35, |v[30:31]|, v[0:1]
	s_delay_alu instid0(VALU_DEP_1)
	s_and_b32 vcc_lo, exec_lo, s35
	s_mov_b32 s35, -1
	s_cbranch_vccz .LBB12_14
; %bb.16:                               ;   in Loop: Header=BB12_15 Depth=2
	s_add_u32 s62, s68, 1
	s_addc_u32 s63, s69, 0
	s_add_u32 s66, s64, 8
	s_addc_u32 s67, s65, 0
	s_add_u32 s60, s60, 8
	s_addc_u32 s61, s61, 0
	s_cmp_ge_i32 s62, s34
	s_mov_b32 s1, 0
	s_cselect_b32 s35, -1, 0
	s_branch .LBB12_14
.LBB12_17:                              ;   in Loop: Header=BB12_7 Depth=1
	s_mov_b32 s35, s58
	s_mov_b64 s[60:61], s[58:59]
	s_and_b32 vcc_lo, exec_lo, s56
	s_cbranch_vccnz .LBB12_21
	s_branch .LBB12_22
.LBB12_18:                              ;   in Loop: Header=BB12_7 Depth=1
	s_xor_b32 s1, s1, -1
                                        ; implicit-def: $sgpr60_sgpr61
	s_delay_alu instid0(SALU_CYCLE_1)
	s_and_b32 vcc_lo, exec_lo, s1
	s_mov_b32 s1, -1
	s_cbranch_vccz .LBB12_20
; %bb.19:                               ;   in Loop: Header=BB12_7 Depth=1
	s_ashr_i32 s35, s34, 31
	s_mov_b32 s56, -1
	s_mov_b32 s1, 0
	s_mov_b64 s[60:61], s[34:35]
.LBB12_20:                              ;   in Loop: Header=BB12_7 Depth=1
	v_dual_mov_b32 v14, s68 :: v_dual_mov_b32 v15, s69
	v_dual_mov_b32 v16, s64 :: v_dual_mov_b32 v17, s65
	;; [unrolled: 1-line block ×3, first 2 shown]
	s_mov_b32 s35, s34
	s_and_b32 vcc_lo, exec_lo, s56
	s_cbranch_vccz .LBB12_22
.LBB12_21:                              ;   in Loop: Header=BB12_7 Depth=1
	v_mov_b32_e32 v0, s35
	ds_store_b32 v6, v0 offset:20
.LBB12_22:                              ;   in Loop: Header=BB12_7 Depth=1
	v_dual_mov_b32 v0, s58 :: v_dual_mov_b32 v1, s59
	v_dual_mov_b32 v2, s60 :: v_dual_mov_b32 v3, s61
	v_mov_b32_e32 v26, s35
	s_and_not1_b32 vcc_lo, exec_lo, s1
	s_cbranch_vccnz .LBB12_24
; %bb.23:                               ;   in Loop: Header=BB12_7 Depth=1
	v_mov_b32_e32 v7, v6
	v_dual_mov_b32 v0, v18 :: v_dual_mov_b32 v1, v19
	v_dual_mov_b32 v2, v14 :: v_dual_mov_b32 v3, v15
	v_mov_b32_e32 v26, v14
	ds_store_b32 v6, v14 offset:20
	global_store_b64 v[16:17], v[6:7], off
.LBB12_24:                              ;   in Loop: Header=BB12_7 Depth=1
	s_delay_alu instid0(VALU_DEP_2) | instskip(SKIP_1) | instid1(VALU_DEP_2)
	v_lshlrev_b64 v[2:3], 3, v[2:3]
	v_lshlrev_b64 v[24:25], 3, v[0:1]
	v_add_co_u32 v0, vcc_lo, s14, v2
	s_delay_alu instid0(VALU_DEP_3) | instskip(NEXT) | instid1(VALU_DEP_3)
	v_add_co_ci_u32_e32 v1, vcc_lo, s15, v3, vcc_lo
	v_add_co_u32 v2, vcc_lo, s14, v24
	s_delay_alu instid0(VALU_DEP_4)
	v_add_co_ci_u32_e32 v3, vcc_lo, s15, v25, vcc_lo
	s_clause 0x1
	global_load_b64 v[0:1], v[0:1], off
	global_load_b64 v[2:3], v[2:3], off
	s_waitcnt vmcnt(0)
	v_cmp_lt_f64_e64 s35, |v[0:1]|, |v[2:3]|
	v_dual_mov_b32 v3, s58 :: v_dual_add_nc_u32 v2, 1, v26
	ds_store_2addr_b32 v6, v26, v26 offset0:8 offset1:10
	ds_store_b32 v6, v3 offset:16
	ds_store_b64 v6, v[2:3] offset:24
	s_and_saveexec_b32 s1, s35
	s_cbranch_execz .LBB12_26
; %bb.25:                               ;   in Loop: Header=BB12_7 Depth=1
	v_mov_b32_e32 v2, s58
	ds_store_2addr_b32 v6, v26, v2 offset0:4 offset1:8
.LBB12_26:                              ;   in Loop: Header=BB12_7 Depth=1
	s_or_b32 exec_lo, exec_lo, s1
	v_and_b32_e32 v1, 0x7fffffff, v1
	s_mov_b32 s35, exec_lo
	v_cmpx_lt_i32_e64 s58, v26
	s_cbranch_execz .LBB12_30
; %bb.27:                               ;   in Loop: Header=BB12_7 Depth=1
	v_add_co_u32 v2, vcc_lo, s75, v24
	v_add_co_ci_u32_e32 v3, vcc_lo, s76, v25, vcc_lo
	v_add_co_u32 v24, vcc_lo, s6, v24
	v_add_co_ci_u32_e32 v25, vcc_lo, s70, v25, vcc_lo
	s_mov_b32 s56, 0
	.p2align	6
.LBB12_28:                              ;   Parent Loop BB12_7 Depth=1
                                        ; =>  This Inner Loop Header: Depth=2
	global_load_b64 v[27:28], v[24:25], off
	global_load_b64 v[29:30], v[2:3], off
	v_max_f64 v[0:1], v[0:1], v[0:1]
	v_add_co_u32 v2, vcc_lo, v2, 8
	s_add_i32 s58, s58, 1
	v_add_co_ci_u32_e32 v3, vcc_lo, 0, v3, vcc_lo
	v_cmp_ge_i32_e32 vcc_lo, s58, v26
	v_add_co_u32 v24, s1, v24, 8
	s_delay_alu instid0(VALU_DEP_1)
	v_add_co_ci_u32_e64 v25, s1, 0, v25, s1
	s_or_b32 s56, vcc_lo, s56
	s_waitcnt vmcnt(1)
	v_max_f64 v[27:28], |v[27:28]|, |v[27:28]|
	s_waitcnt vmcnt(0)
	v_max_f64 v[29:30], |v[29:30]|, |v[29:30]|
	s_delay_alu instid0(VALU_DEP_1) | instskip(NEXT) | instid1(VALU_DEP_1)
	v_max_f64 v[27:28], v[29:30], v[27:28]
	v_max_f64 v[0:1], v[0:1], v[27:28]
	s_and_not1_b32 exec_lo, exec_lo, s56
	s_cbranch_execnz .LBB12_28
; %bb.29:                               ;   in Loop: Header=BB12_7 Depth=1
	s_or_b32 exec_lo, exec_lo, s56
.LBB12_30:                              ;   in Loop: Header=BB12_7 Depth=1
	s_delay_alu instid0(SALU_CYCLE_1)
	s_or_b32 exec_lo, exec_lo, s35
	ds_store_b64 v6, v[0:1] offset:8
.LBB12_31:                              ;   in Loop: Header=BB12_7 Depth=1
	s_or_b32 exec_lo, exec_lo, s3
	s_waitcnt lgkmcnt(0)
	s_waitcnt_vscnt null, 0x0
	s_barrier
	buffer_gl0_inv
	ds_load_b64 v[0:1], v6 offset:8
	ds_load_2addr_b32 v[2:3], v6 offset0:4 offset1:8
	s_waitcnt lgkmcnt(1)
	v_cmp_eq_f64_e32 vcc_lo, 0, v[0:1]
	s_waitcnt lgkmcnt(0)
	v_cmp_eq_u32_e64 s1, v3, v2
	s_delay_alu instid0(VALU_DEP_1) | instskip(NEXT) | instid1(SALU_CYCLE_1)
	s_or_b32 s1, s1, vcc_lo
	s_and_b32 vcc_lo, exec_lo, s1
	s_cbranch_vccnz .LBB12_133
; %bb.32:                               ;   in Loop: Header=BB12_7 Depth=1
	v_cmp_nlt_f64_e32 vcc_lo, s[38:39], v[0:1]
	s_mov_b32 s1, -1
	s_cbranch_vccz .LBB12_41
; %bb.33:                               ;   in Loop: Header=BB12_7 Depth=1
	v_cmp_ngt_f64_e32 vcc_lo, s[22:23], v[0:1]
	s_cbranch_vccnz .LBB12_40
; %bb.34:                               ;   in Loop: Header=BB12_7 Depth=1
	v_div_scale_f64 v[2:3], null, s[22:23], s[22:23], v[0:1]
	s_delay_alu instid0(VALU_DEP_1) | instskip(SKIP_2) | instid1(VALU_DEP_1)
	v_rcp_f64_e32 v[24:25], v[2:3]
	s_waitcnt_depctr 0xfff
	v_fma_f64 v[26:27], -v[2:3], v[24:25], 1.0
	v_fma_f64 v[24:25], v[24:25], v[26:27], v[24:25]
	s_delay_alu instid0(VALU_DEP_1) | instskip(NEXT) | instid1(VALU_DEP_1)
	v_fma_f64 v[26:27], -v[2:3], v[24:25], 1.0
	v_fma_f64 v[24:25], v[24:25], v[26:27], v[24:25]
	v_div_scale_f64 v[26:27], vcc_lo, v[0:1], s[22:23], v[0:1]
	s_delay_alu instid0(VALU_DEP_1) | instskip(NEXT) | instid1(VALU_DEP_1)
	v_mul_f64 v[28:29], v[26:27], v[24:25]
	v_fma_f64 v[2:3], -v[2:3], v[28:29], v[26:27]
	s_delay_alu instid0(VALU_DEP_1)
	v_div_fmas_f64 v[2:3], v[2:3], v[24:25], v[28:29]
	ds_load_2addr_b32 v[24:25], v6 offset0:7 offset1:10
	v_div_fixup_f64 v[2:3], v[2:3], s[22:23], v[0:1]
	s_and_saveexec_b32 s1, s2
	s_cbranch_execz .LBB12_36
; %bb.35:                               ;   in Loop: Header=BB12_7 Depth=1
	s_waitcnt lgkmcnt(0)
	v_ashrrev_i32_e32 v27, 31, v25
	v_mov_b32_e32 v26, v25
	s_delay_alu instid0(VALU_DEP_1) | instskip(NEXT) | instid1(VALU_DEP_1)
	v_lshlrev_b64 v[26:27], 3, v[26:27]
	v_add_co_u32 v26, vcc_lo, s14, v26
	s_delay_alu instid0(VALU_DEP_2)
	v_add_co_ci_u32_e32 v27, vcc_lo, s15, v27, vcc_lo
	global_load_b64 v[28:29], v[26:27], off
	s_waitcnt vmcnt(0)
	v_mul_f64 v[28:29], v[2:3], v[28:29]
	global_store_b64 v[26:27], v[28:29], off
.LBB12_36:                              ;   in Loop: Header=BB12_7 Depth=1
	s_or_b32 exec_lo, exec_lo, s1
	s_waitcnt lgkmcnt(0)
	v_add_nc_u32_e32 v26, v24, v4
	s_mov_b32 s3, exec_lo
	s_delay_alu instid0(VALU_DEP_1)
	v_cmpx_lt_i32_e64 v26, v25
	s_cbranch_execz .LBB12_39
; %bb.37:                               ;   in Loop: Header=BB12_7 Depth=1
	v_ashrrev_i32_e32 v27, 31, v26
	s_mov_b32 s35, 0
	s_delay_alu instid0(VALU_DEP_1)
	v_lshlrev_b64 v[27:28], 3, v[26:27]
	.p2align	6
.LBB12_38:                              ;   Parent Loop BB12_7 Depth=1
                                        ; =>  This Inner Loop Header: Depth=2
	s_delay_alu instid0(VALU_DEP_1) | instskip(NEXT) | instid1(VALU_DEP_2)
	v_add_co_u32 v29, vcc_lo, s14, v27
	v_add_co_ci_u32_e32 v30, vcc_lo, s15, v28, vcc_lo
	v_add_co_u32 v33, vcc_lo, s6, v27
	v_add_co_ci_u32_e32 v34, vcc_lo, s70, v28, vcc_lo
	global_load_b64 v[31:32], v[29:30], off
	v_add_nc_u32_e32 v26, s28, v26
	v_add_co_u32 v27, s1, v27, s48
	s_delay_alu instid0(VALU_DEP_1) | instskip(NEXT) | instid1(VALU_DEP_3)
	v_add_co_ci_u32_e64 v28, s1, s49, v28, s1
	v_cmp_ge_i32_e32 vcc_lo, v26, v25
	s_or_b32 s35, vcc_lo, s35
	s_waitcnt vmcnt(0)
	v_mul_f64 v[31:32], v[2:3], v[31:32]
	global_store_b64 v[29:30], v[31:32], off
	global_load_b64 v[29:30], v[33:34], off
	s_waitcnt vmcnt(0)
	v_mul_f64 v[29:30], v[2:3], v[29:30]
	global_store_b64 v[33:34], v[29:30], off
	s_and_not1_b32 exec_lo, exec_lo, s35
	s_cbranch_execnz .LBB12_38
.LBB12_39:                              ;   in Loop: Header=BB12_7 Depth=1
	s_or_b32 exec_lo, exec_lo, s3
.LBB12_40:                              ;   in Loop: Header=BB12_7 Depth=1
	s_mov_b32 s1, 0
.LBB12_41:                              ;   in Loop: Header=BB12_7 Depth=1
	s_delay_alu instid0(SALU_CYCLE_1)
	s_and_not1_b32 vcc_lo, exec_lo, s1
	s_cbranch_vccnz .LBB12_48
; %bb.42:                               ;   in Loop: Header=BB12_7 Depth=1
	v_div_scale_f64 v[2:3], null, s[38:39], s[38:39], v[0:1]
	s_delay_alu instid0(VALU_DEP_1) | instskip(SKIP_2) | instid1(VALU_DEP_1)
	v_rcp_f64_e32 v[24:25], v[2:3]
	s_waitcnt_depctr 0xfff
	v_fma_f64 v[26:27], -v[2:3], v[24:25], 1.0
	v_fma_f64 v[24:25], v[24:25], v[26:27], v[24:25]
	s_delay_alu instid0(VALU_DEP_1) | instskip(NEXT) | instid1(VALU_DEP_1)
	v_fma_f64 v[26:27], -v[2:3], v[24:25], 1.0
	v_fma_f64 v[24:25], v[24:25], v[26:27], v[24:25]
	v_div_scale_f64 v[26:27], vcc_lo, v[0:1], s[38:39], v[0:1]
	s_delay_alu instid0(VALU_DEP_1) | instskip(NEXT) | instid1(VALU_DEP_1)
	v_mul_f64 v[28:29], v[26:27], v[24:25]
	v_fma_f64 v[2:3], -v[2:3], v[28:29], v[26:27]
	s_delay_alu instid0(VALU_DEP_1) | instskip(NEXT) | instid1(VALU_DEP_1)
	v_div_fmas_f64 v[2:3], v[2:3], v[24:25], v[28:29]
	v_div_fixup_f64 v[0:1], v[2:3], s[38:39], v[0:1]
	ds_load_2addr_b32 v[2:3], v6 offset0:7 offset1:10
	s_and_saveexec_b32 s1, s2
	s_cbranch_execz .LBB12_44
; %bb.43:                               ;   in Loop: Header=BB12_7 Depth=1
	s_waitcnt lgkmcnt(0)
	v_ashrrev_i32_e32 v25, 31, v3
	v_mov_b32_e32 v24, v3
	s_delay_alu instid0(VALU_DEP_1) | instskip(NEXT) | instid1(VALU_DEP_1)
	v_lshlrev_b64 v[24:25], 3, v[24:25]
	v_add_co_u32 v24, vcc_lo, s14, v24
	s_delay_alu instid0(VALU_DEP_2)
	v_add_co_ci_u32_e32 v25, vcc_lo, s15, v25, vcc_lo
	global_load_b64 v[26:27], v[24:25], off
	s_waitcnt vmcnt(0)
	v_mul_f64 v[26:27], v[0:1], v[26:27]
	global_store_b64 v[24:25], v[26:27], off
.LBB12_44:                              ;   in Loop: Header=BB12_7 Depth=1
	s_or_b32 exec_lo, exec_lo, s1
	s_waitcnt lgkmcnt(0)
	v_add_nc_u32_e32 v24, v2, v4
	s_mov_b32 s3, exec_lo
	s_delay_alu instid0(VALU_DEP_1)
	v_cmpx_lt_i32_e64 v24, v3
	s_cbranch_execz .LBB12_47
; %bb.45:                               ;   in Loop: Header=BB12_7 Depth=1
	v_ashrrev_i32_e32 v25, 31, v24
	s_mov_b32 s35, 0
	s_delay_alu instid0(VALU_DEP_1)
	v_lshlrev_b64 v[25:26], 3, v[24:25]
	.p2align	6
.LBB12_46:                              ;   Parent Loop BB12_7 Depth=1
                                        ; =>  This Inner Loop Header: Depth=2
	s_delay_alu instid0(VALU_DEP_1) | instskip(NEXT) | instid1(VALU_DEP_2)
	v_add_co_u32 v27, vcc_lo, s14, v25
	v_add_co_ci_u32_e32 v28, vcc_lo, s15, v26, vcc_lo
	v_add_co_u32 v31, vcc_lo, s6, v25
	v_add_co_ci_u32_e32 v32, vcc_lo, s70, v26, vcc_lo
	global_load_b64 v[29:30], v[27:28], off
	v_add_nc_u32_e32 v24, s28, v24
	v_add_co_u32 v25, s1, v25, s48
	s_delay_alu instid0(VALU_DEP_1) | instskip(NEXT) | instid1(VALU_DEP_3)
	v_add_co_ci_u32_e64 v26, s1, s49, v26, s1
	v_cmp_ge_i32_e32 vcc_lo, v24, v3
	s_or_b32 s35, vcc_lo, s35
	s_waitcnt vmcnt(0)
	v_mul_f64 v[29:30], v[0:1], v[29:30]
	global_store_b64 v[27:28], v[29:30], off
	global_load_b64 v[27:28], v[31:32], off
	s_waitcnt vmcnt(0)
	v_mul_f64 v[27:28], v[0:1], v[27:28]
	global_store_b64 v[31:32], v[27:28], off
	s_and_not1_b32 exec_lo, exec_lo, s35
	s_cbranch_execnz .LBB12_46
.LBB12_47:                              ;   in Loop: Header=BB12_7 Depth=1
	s_or_b32 exec_lo, exec_lo, s3
.LBB12_48:                              ;   in Loop: Header=BB12_7 Depth=1
	s_waitcnt_vscnt null, 0x0
	s_barrier
	buffer_gl0_inv
	ds_load_b64 v[26:27], v6 offset:32
	ds_load_b32 v24, v6 offset:16
	s_waitcnt lgkmcnt(1)
	v_cmp_gt_i32_e64 s1, s33, v27
	s_waitcnt lgkmcnt(0)
	v_cmp_lt_i32_e32 vcc_lo, v26, v24
	s_delay_alu instid0(VALU_DEP_2) | instskip(NEXT) | instid1(VALU_DEP_1)
	v_cndmask_b32_e64 v0, 0, 1, s1
	v_cmp_ne_u32_e64 s3, 1, v0
	s_cbranch_vccnz .LBB12_134
; %bb.49:                               ;   in Loop: Header=BB12_7 Depth=1
	v_dual_mov_b32 v31, v23 :: v_dual_mov_b32 v30, v22
	v_dual_mov_b32 v29, v21 :: v_dual_mov_b32 v28, v20
	;; [unrolled: 1-line block ×4, first 2 shown]
	s_and_b32 vcc_lo, exec_lo, s3
	s_cbranch_vccz .LBB12_53
.LBB12_50:                              ;   in Loop: Header=BB12_7 Depth=1
	s_cbranch_execz .LBB12_137
	s_branch .LBB12_219
.LBB12_51:                              ;   in Loop: Header=BB12_53 Depth=2
	s_or_b32 exec_lo, exec_lo, s35
	s_waitcnt_vscnt null, 0x0
	s_barrier
	buffer_gl0_inv
	ds_load_b32 v32, v6 offset:16
.LBB12_52:                              ;   in Loop: Header=BB12_53 Depth=2
	ds_load_b64 v[36:37], v6 offset:32
	s_waitcnt lgkmcnt(0)
	v_cmp_le_i32_e32 vcc_lo, v32, v36
	v_cmp_gt_i32_e64 s3, s33, v37
	s_delay_alu instid0(VALU_DEP_1) | instskip(NEXT) | instid1(SALU_CYCLE_1)
	s_and_b32 s3, vcc_lo, s3
	s_and_not1_b32 vcc_lo, exec_lo, s3
	s_cbranch_vccnz .LBB12_50
.LBB12_53:                              ;   Parent Loop BB12_7 Depth=1
                                        ; =>  This Loop Header: Depth=2
                                        ;       Child Loop BB12_61 Depth 3
                                        ;       Child Loop BB12_80 Depth 3
	;; [unrolled: 1-line block ×3, first 2 shown]
                                        ;         Child Loop BB12_131 Depth 4
	s_and_saveexec_b32 s35, s2
	s_cbranch_execz .LBB12_126
; %bb.54:                               ;   in Loop: Header=BB12_53 Depth=2
	v_cmp_lt_i32_e32 vcc_lo, v32, v36
	s_mov_b32 s3, 0
	s_cbranch_vccnz .LBB12_58
; %bb.55:                               ;   in Loop: Header=BB12_53 Depth=2
	v_ashrrev_i32_e32 v33, 31, v32
	v_mov_b32_e32 v1, v32
	s_mov_b32 s56, -1
	s_delay_alu instid0(VALU_DEP_2)
	v_mov_b32_e32 v2, v33
	v_mov_b32_e32 v0, v32
	s_cbranch_execz .LBB12_59
; %bb.56:                               ;   in Loop: Header=BB12_53 Depth=2
	s_and_b32 vcc_lo, exec_lo, s56
	s_cbranch_vccz .LBB12_64
.LBB12_57:                              ;   in Loop: Header=BB12_53 Depth=2
	ds_store_2addr_b32 v6, v0, v32 offset0:5 offset1:7
	s_cbranch_execz .LBB12_65
	s_branch .LBB12_66
.LBB12_58:                              ;   in Loop: Header=BB12_53 Depth=2
	s_mov_b32 s56, 0
                                        ; implicit-def: $vgpr1_vgpr2
	v_mov_b32_e32 v0, v32
.LBB12_59:                              ;   in Loop: Header=BB12_53 Depth=2
	v_ashrrev_i32_e32 v33, 31, v32
	v_mov_b32_e32 v7, v32
	s_delay_alu instid0(VALU_DEP_2) | instskip(NEXT) | instid1(VALU_DEP_1)
	v_lshlrev_b64 v[0:1], 3, v[32:33]
	v_add_co_u32 v2, vcc_lo, s6, v0
	s_delay_alu instid0(VALU_DEP_2)
	v_add_co_ci_u32_e32 v3, vcc_lo, s70, v1, vcc_lo
	v_add_co_u32 v0, vcc_lo, s75, v0
	v_add_co_ci_u32_e32 v1, vcc_lo, s76, v1, vcc_lo
	s_branch .LBB12_61
	.p2align	6
.LBB12_60:                              ;   in Loop: Header=BB12_61 Depth=3
	v_add_nc_u32_e32 v7, 1, v25
	v_add_co_u32 v2, vcc_lo, v28, 8
	v_add_co_ci_u32_e32 v3, vcc_lo, 0, v29, vcc_lo
	v_add_co_u32 v0, vcc_lo, v0, 8
	v_add_co_ci_u32_e32 v1, vcc_lo, 0, v1, vcc_lo
	v_cmp_ge_i32_e64 s56, v7, v36
	s_mov_b32 s3, 0
	s_delay_alu instid0(VALU_DEP_1)
	s_and_not1_b32 vcc_lo, exec_lo, s56
	s_cbranch_vccz .LBB12_63
.LBB12_61:                              ;   Parent Loop BB12_7 Depth=1
                                        ;     Parent Loop BB12_53 Depth=2
                                        ; =>    This Inner Loop Header: Depth=3
	global_load_b128 v[38:41], v[0:1], off
	v_dual_mov_b32 v29, v3 :: v_dual_mov_b32 v28, v2
	global_load_b64 v[2:3], v[2:3], off
	v_mov_b32_e32 v25, v7
	s_waitcnt vmcnt(1)
	v_mul_f64 v[30:31], v[38:39], v[40:41]
	s_waitcnt vmcnt(0)
	v_mul_f64 v[2:3], v[2:3], v[2:3]
	s_delay_alu instid0(VALU_DEP_2) | instskip(NEXT) | instid1(VALU_DEP_1)
	v_mul_f64 v[30:31], v[8:9], |v[30:31]|
	v_cmp_le_f64_e64 s3, |v[2:3]|, v[30:31]
	s_delay_alu instid0(VALU_DEP_1)
	s_and_b32 vcc_lo, exec_lo, s3
	s_cbranch_vccz .LBB12_60
; %bb.62:                               ;   in Loop: Header=BB12_53 Depth=2
	s_mov_b32 s3, -1
                                        ; implicit-def: $vgpr7
                                        ; implicit-def: $vgpr2_vgpr3
                                        ; implicit-def: $vgpr0_vgpr1
.LBB12_63:                              ;   in Loop: Header=BB12_53 Depth=2
	v_dual_mov_b32 v30, v32 :: v_dual_mov_b32 v31, v33
	v_mov_b32_e32 v0, v36
	v_dual_mov_b32 v1, v32 :: v_dual_mov_b32 v2, v33
	s_xor_b32 s56, s3, -1
	s_mov_b32 s3, -1
	s_and_b32 vcc_lo, exec_lo, s56
	s_cbranch_vccnz .LBB12_57
.LBB12_64:                              ;   in Loop: Header=BB12_53 Depth=2
                                        ; implicit-def: $vgpr0
                                        ; implicit-def: $vgpr1_vgpr2
	s_and_not1_b32 vcc_lo, exec_lo, s3
	s_cbranch_vccnz .LBB12_66
.LBB12_65:                              ;   in Loop: Header=BB12_53 Depth=2
	v_dual_mov_b32 v1, v30 :: v_dual_mov_b32 v0, v25
	v_dual_mov_b32 v7, v6 :: v_dual_mov_b32 v2, v31
	ds_store_2addr_b32 v6, v25, v32 offset0:5 offset1:7
	global_store_b64 v[28:29], v[6:7], off
.LBB12_66:                              ;   in Loop: Header=BB12_53 Depth=2
	v_lshlrev_b64 v[35:36], 3, v[1:2]
	v_add_nc_u32_e32 v1, 1, v32
	s_mov_b32 s3, exec_lo
	s_delay_alu instid0(VALU_DEP_2) | instskip(NEXT) | instid1(VALU_DEP_3)
	v_add_co_u32 v33, vcc_lo, s14, v35
	v_add_co_ci_u32_e32 v34, vcc_lo, s15, v36, vcc_lo
	global_load_b64 v[43:44], v[33:34], off
	s_waitcnt vmcnt(0)
	ds_store_b64 v6, v[43:44]
	v_cmpx_ne_u32_e64 v0, v32
	s_xor_b32 s56, exec_lo, s3
	s_cbranch_execz .LBB12_123
; %bb.67:                               ;   in Loop: Header=BB12_53 Depth=2
	s_mov_b32 s3, exec_lo
	v_cmpx_ne_u32_e64 v0, v1
	s_xor_b32 s3, exec_lo, s3
	s_cbranch_execz .LBB12_95
; %bb.68:                               ;   in Loop: Header=BB12_53 Depth=2
	v_add_co_u32 v2, vcc_lo, s6, v35
	v_add_co_ci_u32_e32 v3, vcc_lo, s70, v36, vcc_lo
	s_mov_b32 s66, exec_lo
	global_load_b64 v[35:36], v[33:34], off offset:8
	global_load_b64 v[38:39], v[2:3], off
	s_waitcnt vmcnt(1)
	v_add_f64 v[35:36], v[35:36], -v[43:44]
	s_waitcnt vmcnt(0)
	v_add_f64 v[40:41], v[38:39], v[38:39]
	s_delay_alu instid0(VALU_DEP_1) | instskip(SKIP_1) | instid1(VALU_DEP_2)
	v_div_scale_f64 v[45:46], null, v[40:41], v[40:41], v[35:36]
	v_div_scale_f64 v[51:52], vcc_lo, v[35:36], v[40:41], v[35:36]
	v_rcp_f64_e32 v[47:48], v[45:46]
	s_waitcnt_depctr 0xfff
	v_fma_f64 v[49:50], -v[45:46], v[47:48], 1.0
	s_delay_alu instid0(VALU_DEP_1) | instskip(NEXT) | instid1(VALU_DEP_1)
	v_fma_f64 v[47:48], v[47:48], v[49:50], v[47:48]
	v_fma_f64 v[49:50], -v[45:46], v[47:48], 1.0
	s_delay_alu instid0(VALU_DEP_1) | instskip(NEXT) | instid1(VALU_DEP_1)
	v_fma_f64 v[47:48], v[47:48], v[49:50], v[47:48]
	v_mul_f64 v[49:50], v[51:52], v[47:48]
	s_delay_alu instid0(VALU_DEP_1) | instskip(NEXT) | instid1(VALU_DEP_1)
	v_fma_f64 v[45:46], -v[45:46], v[49:50], v[51:52]
	v_div_fmas_f64 v[45:46], v[45:46], v[47:48], v[49:50]
	s_delay_alu instid0(VALU_DEP_1) | instskip(NEXT) | instid1(VALU_DEP_1)
	v_div_fixup_f64 v[35:36], v[45:46], v[40:41], v[35:36]
	v_fma_f64 v[40:41], v[35:36], v[35:36], 1.0
	s_delay_alu instid0(VALU_DEP_1) | instskip(SKIP_1) | instid1(VALU_DEP_1)
	v_cmp_gt_f64_e32 vcc_lo, 0x10000000, v[40:41]
	v_cndmask_b32_e64 v1, 0, 1, vcc_lo
	v_lshlrev_b32_e32 v1, 8, v1
	s_delay_alu instid0(VALU_DEP_1) | instskip(SKIP_1) | instid1(VALU_DEP_2)
	v_ldexp_f64 v[40:41], v[40:41], v1
	v_cndmask_b32_e64 v1, 0, 0xffffff80, vcc_lo
	v_rsq_f64_e32 v[45:46], v[40:41]
	v_cmp_class_f64_e64 vcc_lo, v[40:41], 0x260
	s_waitcnt_depctr 0xfff
	v_mul_f64 v[47:48], v[40:41], v[45:46]
	v_mul_f64 v[45:46], v[45:46], 0.5
	s_delay_alu instid0(VALU_DEP_1) | instskip(NEXT) | instid1(VALU_DEP_1)
	v_fma_f64 v[49:50], -v[45:46], v[47:48], 0.5
	v_fma_f64 v[47:48], v[47:48], v[49:50], v[47:48]
	v_fma_f64 v[45:46], v[45:46], v[49:50], v[45:46]
	s_delay_alu instid0(VALU_DEP_2) | instskip(NEXT) | instid1(VALU_DEP_1)
	v_fma_f64 v[49:50], -v[47:48], v[47:48], v[40:41]
	v_fma_f64 v[47:48], v[49:50], v[45:46], v[47:48]
	s_delay_alu instid0(VALU_DEP_1) | instskip(NEXT) | instid1(VALU_DEP_1)
	v_fma_f64 v[49:50], -v[47:48], v[47:48], v[40:41]
	v_fma_f64 v[45:46], v[49:50], v[45:46], v[47:48]
	s_delay_alu instid0(VALU_DEP_1) | instskip(NEXT) | instid1(VALU_DEP_1)
	v_ldexp_f64 v[45:46], v[45:46], v1
	v_dual_cndmask_b32 v40, v45, v40 :: v_dual_cndmask_b32 v1, v46, v41
	v_cmp_nle_f64_e32 vcc_lo, 0, v[35:36]
	s_delay_alu instid0(VALU_DEP_2) | instskip(SKIP_1) | instid1(VALU_DEP_1)
	v_and_b32_e32 v7, 0x7fffffff, v1
	v_or_b32_e32 v1, 0x80000000, v1
	v_cndmask_b32_e32 v41, v7, v1, vcc_lo
	v_ashrrev_i32_e32 v1, 31, v0
	v_mov_b32_e32 v7, v6
	s_delay_alu instid0(VALU_DEP_3) | instskip(NEXT) | instid1(VALU_DEP_3)
	v_add_f64 v[35:36], v[35:36], v[40:41]
	v_lshlrev_b64 v[45:46], 3, v[0:1]
	v_add_nc_u32_e32 v1, 1, v37
	s_delay_alu instid0(VALU_DEP_2) | instskip(NEXT) | instid1(VALU_DEP_3)
	v_add_co_u32 v41, vcc_lo, s14, v45
	v_add_co_ci_u32_e32 v42, vcc_lo, s15, v46, vcc_lo
	global_load_b64 v[47:48], v[41:42], off
	ds_store_b32 v6, v1 offset:36
	ds_store_b64 v6, v[6:7]
	v_div_scale_f64 v[49:50], null, v[35:36], v[35:36], v[38:39]
	s_delay_alu instid0(VALU_DEP_1) | instskip(SKIP_2) | instid1(VALU_DEP_1)
	v_rcp_f64_e32 v[51:52], v[49:50]
	s_waitcnt_depctr 0xfff
	v_fma_f64 v[53:54], -v[49:50], v[51:52], 1.0
	v_fma_f64 v[51:52], v[51:52], v[53:54], v[51:52]
	s_delay_alu instid0(VALU_DEP_1) | instskip(NEXT) | instid1(VALU_DEP_1)
	v_fma_f64 v[53:54], -v[49:50], v[51:52], 1.0
	v_fma_f64 v[51:52], v[51:52], v[53:54], v[51:52]
	v_div_scale_f64 v[53:54], vcc_lo, v[38:39], v[35:36], v[38:39]
	s_delay_alu instid0(VALU_DEP_1) | instskip(NEXT) | instid1(VALU_DEP_1)
	v_mul_f64 v[58:59], v[53:54], v[51:52]
	v_fma_f64 v[49:50], -v[49:50], v[58:59], v[53:54]
	s_delay_alu instid0(VALU_DEP_1) | instskip(SKIP_2) | instid1(VALU_DEP_2)
	v_div_fmas_f64 v[49:50], v[49:50], v[51:52], v[58:59]
	s_waitcnt vmcnt(0)
	v_add_f64 v[51:52], v[47:48], -v[43:44]
	v_div_fixup_f64 v[35:36], v[49:50], v[35:36], v[38:39]
	v_mov_b32_e32 v37, 0
	v_mov_b32_e32 v38, 0
	s_delay_alu instid0(VALU_DEP_3)
	v_add_f64 v[35:36], v[51:52], v[35:36]
	v_cmpx_gt_i32_e64 v0, v32
	s_cbranch_execz .LBB12_94
; %bb.69:                               ;   in Loop: Header=BB12_53 Depth=2
	v_add_co_u32 v37, vcc_lo, s42, v45
	v_add_co_ci_u32_e32 v38, vcc_lo, s43, v46, vcc_lo
	v_mov_b32_e32 v39, 0
	v_dual_mov_b32 v40, 0x3ff00000 :: v_dual_mov_b32 v51, 0
	global_load_b64 v[43:44], v[37:38], off
	v_mov_b32_e32 v52, 0
	s_mov_b32 s58, exec_lo
	s_waitcnt vmcnt(0)
	v_cmpx_neq_f64_e32 0, v[43:44]
	s_cbranch_execz .LBB12_77
; %bb.70:                               ;   in Loop: Header=BB12_53 Depth=2
	v_mov_b32_e32 v51, 0
	v_dual_mov_b32 v52, 0x3ff00000 :: v_dual_mov_b32 v39, 0
	v_mov_b32_e32 v40, 0
	s_mov_b32 s59, exec_lo
	v_cmpx_neq_f64_e32 0, v[35:36]
	s_cbranch_execz .LBB12_76
; %bb.71:                               ;   in Loop: Header=BB12_53 Depth=2
	v_cmp_ngt_f64_e64 s60, |v[43:44]|, |v[35:36]|
                                        ; implicit-def: $vgpr51_vgpr52
                                        ; implicit-def: $vgpr39_vgpr40
	s_delay_alu instid0(VALU_DEP_1) | instskip(NEXT) | instid1(SALU_CYCLE_1)
	s_and_saveexec_b32 s61, s60
	s_xor_b32 s60, exec_lo, s61
	s_cbranch_execz .LBB12_73
; %bb.72:                               ;   in Loop: Header=BB12_53 Depth=2
	v_div_scale_f64 v[37:38], null, v[35:36], v[35:36], -v[43:44]
	v_div_scale_f64 v[51:52], vcc_lo, -v[43:44], v[35:36], -v[43:44]
	s_delay_alu instid0(VALU_DEP_2) | instskip(SKIP_2) | instid1(VALU_DEP_1)
	v_rcp_f64_e32 v[39:40], v[37:38]
	s_waitcnt_depctr 0xfff
	v_fma_f64 v[49:50], -v[37:38], v[39:40], 1.0
	v_fma_f64 v[39:40], v[39:40], v[49:50], v[39:40]
	s_delay_alu instid0(VALU_DEP_1) | instskip(NEXT) | instid1(VALU_DEP_1)
	v_fma_f64 v[49:50], -v[37:38], v[39:40], 1.0
	v_fma_f64 v[39:40], v[39:40], v[49:50], v[39:40]
	s_delay_alu instid0(VALU_DEP_1) | instskip(NEXT) | instid1(VALU_DEP_1)
	v_mul_f64 v[49:50], v[51:52], v[39:40]
	v_fma_f64 v[37:38], -v[37:38], v[49:50], v[51:52]
	s_delay_alu instid0(VALU_DEP_1) | instskip(NEXT) | instid1(VALU_DEP_1)
	v_div_fmas_f64 v[37:38], v[37:38], v[39:40], v[49:50]
	v_div_fixup_f64 v[35:36], v[37:38], v[35:36], -v[43:44]
	s_delay_alu instid0(VALU_DEP_1) | instskip(NEXT) | instid1(VALU_DEP_1)
	v_fma_f64 v[37:38], v[35:36], v[35:36], 1.0
	v_cmp_gt_f64_e32 vcc_lo, 0x10000000, v[37:38]
	v_cndmask_b32_e64 v1, 0, 1, vcc_lo
	s_delay_alu instid0(VALU_DEP_1) | instskip(NEXT) | instid1(VALU_DEP_1)
	v_lshlrev_b32_e32 v1, 8, v1
	v_ldexp_f64 v[37:38], v[37:38], v1
	v_cndmask_b32_e64 v1, 0, 0xffffff80, vcc_lo
	s_delay_alu instid0(VALU_DEP_2) | instskip(SKIP_4) | instid1(VALU_DEP_1)
	v_rsq_f64_e32 v[39:40], v[37:38]
	v_cmp_class_f64_e64 vcc_lo, v[37:38], 0x260
	s_waitcnt_depctr 0xfff
	v_mul_f64 v[49:50], v[37:38], v[39:40]
	v_mul_f64 v[39:40], v[39:40], 0.5
	v_fma_f64 v[51:52], -v[39:40], v[49:50], 0.5
	s_delay_alu instid0(VALU_DEP_1) | instskip(SKIP_1) | instid1(VALU_DEP_2)
	v_fma_f64 v[49:50], v[49:50], v[51:52], v[49:50]
	v_fma_f64 v[39:40], v[39:40], v[51:52], v[39:40]
	v_fma_f64 v[51:52], -v[49:50], v[49:50], v[37:38]
	s_delay_alu instid0(VALU_DEP_1) | instskip(NEXT) | instid1(VALU_DEP_1)
	v_fma_f64 v[49:50], v[51:52], v[39:40], v[49:50]
	v_fma_f64 v[51:52], -v[49:50], v[49:50], v[37:38]
	s_delay_alu instid0(VALU_DEP_1) | instskip(NEXT) | instid1(VALU_DEP_1)
	v_fma_f64 v[39:40], v[51:52], v[39:40], v[49:50]
	v_ldexp_f64 v[39:40], v[39:40], v1
	s_delay_alu instid0(VALU_DEP_1) | instskip(NEXT) | instid1(VALU_DEP_1)
	v_dual_cndmask_b32 v38, v40, v38 :: v_dual_cndmask_b32 v37, v39, v37
	v_div_scale_f64 v[39:40], null, v[37:38], v[37:38], 1.0
	s_delay_alu instid0(VALU_DEP_1) | instskip(SKIP_2) | instid1(VALU_DEP_1)
	v_rcp_f64_e32 v[49:50], v[39:40]
	s_waitcnt_depctr 0xfff
	v_fma_f64 v[51:52], -v[39:40], v[49:50], 1.0
	v_fma_f64 v[49:50], v[49:50], v[51:52], v[49:50]
	s_delay_alu instid0(VALU_DEP_1) | instskip(NEXT) | instid1(VALU_DEP_1)
	v_fma_f64 v[51:52], -v[39:40], v[49:50], 1.0
	v_fma_f64 v[49:50], v[49:50], v[51:52], v[49:50]
	v_div_scale_f64 v[51:52], vcc_lo, 1.0, v[37:38], 1.0
	s_delay_alu instid0(VALU_DEP_1) | instskip(NEXT) | instid1(VALU_DEP_1)
	v_mul_f64 v[53:54], v[51:52], v[49:50]
	v_fma_f64 v[39:40], -v[39:40], v[53:54], v[51:52]
	s_delay_alu instid0(VALU_DEP_1) | instskip(NEXT) | instid1(VALU_DEP_1)
	v_div_fmas_f64 v[39:40], v[39:40], v[49:50], v[53:54]
	v_div_fixup_f64 v[39:40], v[39:40], v[37:38], 1.0
	s_delay_alu instid0(VALU_DEP_1)
	v_mul_f64 v[51:52], v[35:36], v[39:40]
                                        ; implicit-def: $vgpr35_vgpr36
.LBB12_73:                              ;   in Loop: Header=BB12_53 Depth=2
	s_and_not1_saveexec_b32 s60, s60
	s_cbranch_execz .LBB12_75
; %bb.74:                               ;   in Loop: Header=BB12_53 Depth=2
	v_div_scale_f64 v[37:38], null, v[43:44], v[43:44], -v[35:36]
	v_div_scale_f64 v[51:52], vcc_lo, -v[35:36], v[43:44], -v[35:36]
	s_delay_alu instid0(VALU_DEP_2) | instskip(SKIP_2) | instid1(VALU_DEP_1)
	v_rcp_f64_e32 v[39:40], v[37:38]
	s_waitcnt_depctr 0xfff
	v_fma_f64 v[49:50], -v[37:38], v[39:40], 1.0
	v_fma_f64 v[39:40], v[39:40], v[49:50], v[39:40]
	s_delay_alu instid0(VALU_DEP_1) | instskip(NEXT) | instid1(VALU_DEP_1)
	v_fma_f64 v[49:50], -v[37:38], v[39:40], 1.0
	v_fma_f64 v[39:40], v[39:40], v[49:50], v[39:40]
	s_delay_alu instid0(VALU_DEP_1) | instskip(NEXT) | instid1(VALU_DEP_1)
	v_mul_f64 v[49:50], v[51:52], v[39:40]
	v_fma_f64 v[37:38], -v[37:38], v[49:50], v[51:52]
	s_delay_alu instid0(VALU_DEP_1) | instskip(NEXT) | instid1(VALU_DEP_1)
	v_div_fmas_f64 v[37:38], v[37:38], v[39:40], v[49:50]
	v_div_fixup_f64 v[35:36], v[37:38], v[43:44], -v[35:36]
	s_delay_alu instid0(VALU_DEP_1) | instskip(NEXT) | instid1(VALU_DEP_1)
	v_fma_f64 v[37:38], v[35:36], v[35:36], 1.0
	v_cmp_gt_f64_e32 vcc_lo, 0x10000000, v[37:38]
	v_cndmask_b32_e64 v1, 0, 1, vcc_lo
	s_delay_alu instid0(VALU_DEP_1) | instskip(NEXT) | instid1(VALU_DEP_1)
	v_lshlrev_b32_e32 v1, 8, v1
	v_ldexp_f64 v[37:38], v[37:38], v1
	v_cndmask_b32_e64 v1, 0, 0xffffff80, vcc_lo
	s_delay_alu instid0(VALU_DEP_2) | instskip(SKIP_4) | instid1(VALU_DEP_1)
	v_rsq_f64_e32 v[39:40], v[37:38]
	v_cmp_class_f64_e64 vcc_lo, v[37:38], 0x260
	s_waitcnt_depctr 0xfff
	v_mul_f64 v[49:50], v[37:38], v[39:40]
	v_mul_f64 v[39:40], v[39:40], 0.5
	v_fma_f64 v[51:52], -v[39:40], v[49:50], 0.5
	s_delay_alu instid0(VALU_DEP_1) | instskip(SKIP_1) | instid1(VALU_DEP_2)
	v_fma_f64 v[49:50], v[49:50], v[51:52], v[49:50]
	v_fma_f64 v[39:40], v[39:40], v[51:52], v[39:40]
	v_fma_f64 v[51:52], -v[49:50], v[49:50], v[37:38]
	s_delay_alu instid0(VALU_DEP_1) | instskip(NEXT) | instid1(VALU_DEP_1)
	v_fma_f64 v[49:50], v[51:52], v[39:40], v[49:50]
	v_fma_f64 v[51:52], -v[49:50], v[49:50], v[37:38]
	s_delay_alu instid0(VALU_DEP_1) | instskip(NEXT) | instid1(VALU_DEP_1)
	v_fma_f64 v[39:40], v[51:52], v[39:40], v[49:50]
	v_ldexp_f64 v[39:40], v[39:40], v1
	s_delay_alu instid0(VALU_DEP_1) | instskip(NEXT) | instid1(VALU_DEP_1)
	v_dual_cndmask_b32 v38, v40, v38 :: v_dual_cndmask_b32 v37, v39, v37
	v_div_scale_f64 v[39:40], null, v[37:38], v[37:38], 1.0
	s_delay_alu instid0(VALU_DEP_1) | instskip(SKIP_2) | instid1(VALU_DEP_1)
	v_rcp_f64_e32 v[49:50], v[39:40]
	s_waitcnt_depctr 0xfff
	v_fma_f64 v[51:52], -v[39:40], v[49:50], 1.0
	v_fma_f64 v[49:50], v[49:50], v[51:52], v[49:50]
	s_delay_alu instid0(VALU_DEP_1) | instskip(NEXT) | instid1(VALU_DEP_1)
	v_fma_f64 v[51:52], -v[39:40], v[49:50], 1.0
	v_fma_f64 v[49:50], v[49:50], v[51:52], v[49:50]
	v_div_scale_f64 v[51:52], vcc_lo, 1.0, v[37:38], 1.0
	s_delay_alu instid0(VALU_DEP_1) | instskip(NEXT) | instid1(VALU_DEP_1)
	v_mul_f64 v[53:54], v[51:52], v[49:50]
	v_fma_f64 v[39:40], -v[39:40], v[53:54], v[51:52]
	s_delay_alu instid0(VALU_DEP_1) | instskip(NEXT) | instid1(VALU_DEP_1)
	v_div_fmas_f64 v[39:40], v[39:40], v[49:50], v[53:54]
	v_div_fixup_f64 v[51:52], v[39:40], v[37:38], 1.0
	s_delay_alu instid0(VALU_DEP_1)
	v_mul_f64 v[39:40], v[35:36], v[51:52]
.LBB12_75:                              ;   in Loop: Header=BB12_53 Depth=2
	s_or_b32 exec_lo, exec_lo, s60
.LBB12_76:                              ;   in Loop: Header=BB12_53 Depth=2
	s_delay_alu instid0(SALU_CYCLE_1)
	s_or_b32 exec_lo, exec_lo, s59
.LBB12_77:                              ;   in Loop: Header=BB12_53 Depth=2
	s_delay_alu instid0(SALU_CYCLE_1)
	s_or_b32 exec_lo, exec_lo, s58
	global_load_b64 v[35:36], v[41:42], off offset:-8
	v_add_f64 v[37:38], v[39:40], v[39:40]
	s_mov_b32 s67, exec_lo
	s_waitcnt vmcnt(0)
	v_add_f64 v[35:36], v[35:36], -v[47:48]
	s_delay_alu instid0(VALU_DEP_1) | instskip(NEXT) | instid1(VALU_DEP_1)
	v_mul_f64 v[35:36], v[51:52], v[35:36]
	v_fma_f64 v[35:36], v[43:44], v[37:38], -v[35:36]
	s_delay_alu instid0(VALU_DEP_1)
	v_mul_f64 v[37:38], v[35:36], -v[51:52]
	v_fma_f64 v[47:48], v[35:36], -v[51:52], v[47:48]
	v_fma_f64 v[35:36], v[39:40], v[35:36], -v[43:44]
	v_add_co_u32 v44, vcc_lo, s44, v45
	v_add_co_ci_u32_e32 v45, vcc_lo, s45, v46, vcc_lo
	v_add_nc_u32_e32 v43, -1, v0
	s_delay_alu instid0(VALU_DEP_3) | instskip(NEXT) | instid1(VALU_DEP_3)
	v_add_co_u32 v49, vcc_lo, v44, s46
	v_add_co_ci_u32_e32 v50, vcc_lo, s47, v45, vcc_lo
	ds_store_b64 v6, v[37:38]
	global_store_b64 v[41:42], v[47:48], off
	s_clause 0x1
	global_store_b64 v[44:45], v[39:40], off
	global_store_b64 v[49:50], v[51:52], off offset:-8
	v_cmpx_gt_i32_e64 v43, v32
	s_cbranch_execz .LBB12_93
; %bb.78:                               ;   in Loop: Header=BB12_53 Depth=2
	v_ashrrev_i32_e32 v44, 31, v43
	v_xor_b32_e32 v52, 0x80000000, v52
	s_mov_b32 s68, -1
	s_mov_b32 s69, 0
	s_mov_b64 s[58:59], s[42:43]
	v_lshlrev_b64 v[41:42], 3, v[43:44]
	s_mov_b64 s[60:61], s[14:15]
	s_mov_b64 s[62:63], s[50:51]
	;; [unrolled: 1-line block ×3, first 2 shown]
	s_branch .LBB12_80
.LBB12_79:                              ;   in Loop: Header=BB12_80 Depth=3
	v_add_co_u32 v58, vcc_lo, s60, v41
	v_add_co_ci_u32_e32 v59, vcc_lo, s61, v42, vcc_lo
	v_mul_f64 v[39:40], v[39:40], v[43:44]
	v_add_f64 v[43:44], v[53:54], v[53:54]
	v_xor_b32_e32 v52, 0x80000000, v50
	global_load_b128 v[45:48], v[58:59], off offset:-8
	v_mov_b32_e32 v51, v49
	s_waitcnt vmcnt(0)
	v_add_f64 v[35:36], v[47:48], -v[37:38]
	s_delay_alu instid0(VALU_DEP_1) | instskip(NEXT) | instid1(VALU_DEP_1)
	v_add_f64 v[37:38], v[45:46], -v[35:36]
	v_mul_f64 v[37:38], v[49:50], v[37:38]
	s_delay_alu instid0(VALU_DEP_1) | instskip(NEXT) | instid1(VALU_DEP_1)
	v_fma_f64 v[43:44], v[39:40], v[43:44], -v[37:38]
	v_fma_f64 v[45:46], v[43:44], -v[49:50], v[35:36]
	v_mul_f64 v[37:38], v[43:44], -v[49:50]
	v_fma_f64 v[35:36], v[53:54], v[43:44], -v[39:40]
	v_add_co_u32 v43, vcc_lo, s64, v41
	v_add_co_ci_u32_e32 v44, vcc_lo, s65, v42, vcc_lo
	s_add_u32 s64, s64, -8
	v_add_co_u32 v47, vcc_lo, s62, v41
	s_addc_u32 s65, s65, -1
	s_add_u32 s62, s62, -8
	v_add_co_ci_u32_e32 v48, vcc_lo, s63, v42, vcc_lo
	s_addc_u32 s63, s63, -1
	s_add_i32 s68, s68, -1
	v_mov_b32_e32 v39, v53
	v_dual_mov_b32 v40, v54 :: v_dual_add_nc_u32 v1, s68, v0
	s_add_u32 s60, s60, -8
	s_addc_u32 s61, s61, -1
	s_add_u32 s58, s58, -8
	s_delay_alu instid0(VALU_DEP_1)
	v_cmp_le_i32_e32 vcc_lo, v1, v32
	s_addc_u32 s59, s59, -1
	global_store_b64 v[58:59], v[45:46], off
	global_store_b64 v[43:44], v[53:54], off
	global_store_b64 v[47:48], v[49:50], off
	s_or_b32 s69, vcc_lo, s69
	s_delay_alu instid0(SALU_CYCLE_1)
	s_and_not1_b32 exec_lo, exec_lo, s69
	s_cbranch_execz .LBB12_92
.LBB12_80:                              ;   Parent Loop BB12_7 Depth=1
                                        ;     Parent Loop BB12_53 Depth=2
                                        ; =>    This Inner Loop Header: Depth=3
	s_delay_alu instid0(VALU_DEP_1)
	v_add_co_u32 v45, vcc_lo, s58, v41
	v_add_co_ci_u32_e32 v46, vcc_lo, s59, v42, vcc_lo
	v_mov_b32_e32 v53, 0
	v_dual_mov_b32 v54, 0x3ff00000 :: v_dual_mov_b32 v49, 0
	global_load_b64 v[43:44], v[45:46], off
	v_mov_b32_e32 v50, 0
	s_mov_b32 s83, exec_lo
	s_waitcnt vmcnt(0)
	v_mul_f64 v[47:48], v[51:52], v[43:44]
	s_delay_alu instid0(VALU_DEP_1)
	v_cmpx_neq_f64_e32 0, v[47:48]
	s_cbranch_execz .LBB12_90
; %bb.81:                               ;   in Loop: Header=BB12_80 Depth=3
	s_mov_b32 s84, exec_lo
                                        ; implicit-def: $vgpr49_vgpr50
                                        ; implicit-def: $vgpr53_vgpr54
	v_cmpx_neq_f64_e32 0, v[35:36]
	s_xor_b32 s84, exec_lo, s84
	s_cbranch_execz .LBB12_87
; %bb.82:                               ;   in Loop: Header=BB12_80 Depth=3
	v_cmp_ngt_f64_e64 s85, |v[47:48]|, |v[35:36]|
                                        ; implicit-def: $vgpr49_vgpr50
                                        ; implicit-def: $vgpr53_vgpr54
	s_delay_alu instid0(VALU_DEP_1) | instskip(NEXT) | instid1(SALU_CYCLE_1)
	s_and_saveexec_b32 s86, s85
	s_xor_b32 s85, exec_lo, s86
	s_cbranch_execz .LBB12_84
; %bb.83:                               ;   in Loop: Header=BB12_80 Depth=3
	v_div_scale_f64 v[49:50], null, v[35:36], v[35:36], -v[47:48]
	v_div_scale_f64 v[58:59], vcc_lo, -v[47:48], v[35:36], -v[47:48]
	s_delay_alu instid0(VALU_DEP_2) | instskip(SKIP_2) | instid1(VALU_DEP_1)
	v_rcp_f64_e32 v[51:52], v[49:50]
	s_waitcnt_depctr 0xfff
	v_fma_f64 v[53:54], -v[49:50], v[51:52], 1.0
	v_fma_f64 v[51:52], v[51:52], v[53:54], v[51:52]
	s_delay_alu instid0(VALU_DEP_1) | instskip(NEXT) | instid1(VALU_DEP_1)
	v_fma_f64 v[53:54], -v[49:50], v[51:52], 1.0
	v_fma_f64 v[51:52], v[51:52], v[53:54], v[51:52]
	s_delay_alu instid0(VALU_DEP_1) | instskip(NEXT) | instid1(VALU_DEP_1)
	v_mul_f64 v[53:54], v[58:59], v[51:52]
	v_fma_f64 v[49:50], -v[49:50], v[53:54], v[58:59]
	s_delay_alu instid0(VALU_DEP_1) | instskip(NEXT) | instid1(VALU_DEP_1)
	v_div_fmas_f64 v[49:50], v[49:50], v[51:52], v[53:54]
	v_div_fixup_f64 v[49:50], v[49:50], v[35:36], -v[47:48]
	s_delay_alu instid0(VALU_DEP_1) | instskip(NEXT) | instid1(VALU_DEP_1)
	v_fma_f64 v[51:52], v[49:50], v[49:50], 1.0
	v_cmp_gt_f64_e32 vcc_lo, 0x10000000, v[51:52]
	v_cndmask_b32_e64 v1, 0, 1, vcc_lo
	s_delay_alu instid0(VALU_DEP_1) | instskip(NEXT) | instid1(VALU_DEP_1)
	v_lshlrev_b32_e32 v1, 8, v1
	v_ldexp_f64 v[51:52], v[51:52], v1
	v_cndmask_b32_e64 v1, 0, 0xffffff80, vcc_lo
	s_delay_alu instid0(VALU_DEP_2) | instskip(SKIP_4) | instid1(VALU_DEP_1)
	v_rsq_f64_e32 v[53:54], v[51:52]
	v_cmp_class_f64_e64 vcc_lo, v[51:52], 0x260
	s_waitcnt_depctr 0xfff
	v_mul_f64 v[58:59], v[51:52], v[53:54]
	v_mul_f64 v[53:54], v[53:54], 0.5
	v_fma_f64 v[60:61], -v[53:54], v[58:59], 0.5
	s_delay_alu instid0(VALU_DEP_1) | instskip(SKIP_1) | instid1(VALU_DEP_2)
	v_fma_f64 v[58:59], v[58:59], v[60:61], v[58:59]
	v_fma_f64 v[53:54], v[53:54], v[60:61], v[53:54]
	v_fma_f64 v[60:61], -v[58:59], v[58:59], v[51:52]
	s_delay_alu instid0(VALU_DEP_1) | instskip(NEXT) | instid1(VALU_DEP_1)
	v_fma_f64 v[58:59], v[60:61], v[53:54], v[58:59]
	v_fma_f64 v[60:61], -v[58:59], v[58:59], v[51:52]
	s_delay_alu instid0(VALU_DEP_1) | instskip(NEXT) | instid1(VALU_DEP_1)
	v_fma_f64 v[53:54], v[60:61], v[53:54], v[58:59]
	v_ldexp_f64 v[53:54], v[53:54], v1
	s_delay_alu instid0(VALU_DEP_1) | instskip(NEXT) | instid1(VALU_DEP_1)
	v_dual_cndmask_b32 v52, v54, v52 :: v_dual_cndmask_b32 v51, v53, v51
	v_div_scale_f64 v[53:54], null, v[51:52], v[51:52], 1.0
	s_delay_alu instid0(VALU_DEP_1) | instskip(SKIP_2) | instid1(VALU_DEP_1)
	v_rcp_f64_e32 v[58:59], v[53:54]
	s_waitcnt_depctr 0xfff
	v_fma_f64 v[60:61], -v[53:54], v[58:59], 1.0
	v_fma_f64 v[58:59], v[58:59], v[60:61], v[58:59]
	s_delay_alu instid0(VALU_DEP_1) | instskip(NEXT) | instid1(VALU_DEP_1)
	v_fma_f64 v[60:61], -v[53:54], v[58:59], 1.0
	v_fma_f64 v[58:59], v[58:59], v[60:61], v[58:59]
	v_div_scale_f64 v[60:61], vcc_lo, 1.0, v[51:52], 1.0
	s_delay_alu instid0(VALU_DEP_1) | instskip(NEXT) | instid1(VALU_DEP_1)
	v_mul_f64 v[62:63], v[60:61], v[58:59]
	v_fma_f64 v[53:54], -v[53:54], v[62:63], v[60:61]
	s_delay_alu instid0(VALU_DEP_1) | instskip(NEXT) | instid1(VALU_DEP_1)
	v_div_fmas_f64 v[53:54], v[53:54], v[58:59], v[62:63]
	v_div_fixup_f64 v[53:54], v[53:54], v[51:52], 1.0
	s_delay_alu instid0(VALU_DEP_1)
	v_mul_f64 v[49:50], v[49:50], v[53:54]
.LBB12_84:                              ;   in Loop: Header=BB12_80 Depth=3
	s_and_not1_saveexec_b32 s85, s85
	s_cbranch_execz .LBB12_86
; %bb.85:                               ;   in Loop: Header=BB12_80 Depth=3
	v_div_scale_f64 v[49:50], null, v[47:48], v[47:48], -v[35:36]
	v_div_scale_f64 v[58:59], vcc_lo, -v[35:36], v[47:48], -v[35:36]
	s_delay_alu instid0(VALU_DEP_2) | instskip(SKIP_2) | instid1(VALU_DEP_1)
	v_rcp_f64_e32 v[51:52], v[49:50]
	s_waitcnt_depctr 0xfff
	v_fma_f64 v[53:54], -v[49:50], v[51:52], 1.0
	v_fma_f64 v[51:52], v[51:52], v[53:54], v[51:52]
	s_delay_alu instid0(VALU_DEP_1) | instskip(NEXT) | instid1(VALU_DEP_1)
	v_fma_f64 v[53:54], -v[49:50], v[51:52], 1.0
	v_fma_f64 v[51:52], v[51:52], v[53:54], v[51:52]
	s_delay_alu instid0(VALU_DEP_1) | instskip(NEXT) | instid1(VALU_DEP_1)
	v_mul_f64 v[53:54], v[58:59], v[51:52]
	v_fma_f64 v[49:50], -v[49:50], v[53:54], v[58:59]
	s_delay_alu instid0(VALU_DEP_1) | instskip(NEXT) | instid1(VALU_DEP_1)
	v_div_fmas_f64 v[49:50], v[49:50], v[51:52], v[53:54]
	v_div_fixup_f64 v[51:52], v[49:50], v[47:48], -v[35:36]
	s_delay_alu instid0(VALU_DEP_1) | instskip(NEXT) | instid1(VALU_DEP_1)
	v_fma_f64 v[49:50], v[51:52], v[51:52], 1.0
	v_cmp_gt_f64_e32 vcc_lo, 0x10000000, v[49:50]
	v_cndmask_b32_e64 v1, 0, 1, vcc_lo
	s_delay_alu instid0(VALU_DEP_1) | instskip(NEXT) | instid1(VALU_DEP_1)
	v_lshlrev_b32_e32 v1, 8, v1
	v_ldexp_f64 v[49:50], v[49:50], v1
	v_cndmask_b32_e64 v1, 0, 0xffffff80, vcc_lo
	s_delay_alu instid0(VALU_DEP_2) | instskip(SKIP_4) | instid1(VALU_DEP_1)
	v_rsq_f64_e32 v[53:54], v[49:50]
	v_cmp_class_f64_e64 vcc_lo, v[49:50], 0x260
	s_waitcnt_depctr 0xfff
	v_mul_f64 v[58:59], v[49:50], v[53:54]
	v_mul_f64 v[53:54], v[53:54], 0.5
	v_fma_f64 v[60:61], -v[53:54], v[58:59], 0.5
	s_delay_alu instid0(VALU_DEP_1) | instskip(SKIP_1) | instid1(VALU_DEP_2)
	v_fma_f64 v[58:59], v[58:59], v[60:61], v[58:59]
	v_fma_f64 v[53:54], v[53:54], v[60:61], v[53:54]
	v_fma_f64 v[60:61], -v[58:59], v[58:59], v[49:50]
	s_delay_alu instid0(VALU_DEP_1) | instskip(NEXT) | instid1(VALU_DEP_1)
	v_fma_f64 v[58:59], v[60:61], v[53:54], v[58:59]
	v_fma_f64 v[60:61], -v[58:59], v[58:59], v[49:50]
	s_delay_alu instid0(VALU_DEP_1) | instskip(NEXT) | instid1(VALU_DEP_1)
	v_fma_f64 v[53:54], v[60:61], v[53:54], v[58:59]
	v_ldexp_f64 v[53:54], v[53:54], v1
	s_delay_alu instid0(VALU_DEP_1) | instskip(NEXT) | instid1(VALU_DEP_1)
	v_dual_cndmask_b32 v50, v54, v50 :: v_dual_cndmask_b32 v49, v53, v49
	v_div_scale_f64 v[53:54], null, v[49:50], v[49:50], 1.0
	s_delay_alu instid0(VALU_DEP_1) | instskip(SKIP_2) | instid1(VALU_DEP_1)
	v_rcp_f64_e32 v[58:59], v[53:54]
	s_waitcnt_depctr 0xfff
	v_fma_f64 v[60:61], -v[53:54], v[58:59], 1.0
	v_fma_f64 v[58:59], v[58:59], v[60:61], v[58:59]
	s_delay_alu instid0(VALU_DEP_1) | instskip(NEXT) | instid1(VALU_DEP_1)
	v_fma_f64 v[60:61], -v[53:54], v[58:59], 1.0
	v_fma_f64 v[58:59], v[58:59], v[60:61], v[58:59]
	v_div_scale_f64 v[60:61], vcc_lo, 1.0, v[49:50], 1.0
	s_delay_alu instid0(VALU_DEP_1) | instskip(NEXT) | instid1(VALU_DEP_1)
	v_mul_f64 v[62:63], v[60:61], v[58:59]
	v_fma_f64 v[53:54], -v[53:54], v[62:63], v[60:61]
	s_delay_alu instid0(VALU_DEP_1) | instskip(NEXT) | instid1(VALU_DEP_1)
	v_div_fmas_f64 v[53:54], v[53:54], v[58:59], v[62:63]
	v_div_fixup_f64 v[49:50], v[53:54], v[49:50], 1.0
	s_delay_alu instid0(VALU_DEP_1)
	v_mul_f64 v[53:54], v[51:52], v[49:50]
.LBB12_86:                              ;   in Loop: Header=BB12_80 Depth=3
	s_or_b32 exec_lo, exec_lo, s85
	s_delay_alu instid0(VALU_DEP_1) | instskip(NEXT) | instid1(VALU_DEP_1)
	v_mul_f64 v[47:48], v[47:48], v[49:50]
	v_fma_f64 v[35:36], v[35:36], v[53:54], -v[47:48]
                                        ; implicit-def: $vgpr47_vgpr48
.LBB12_87:                              ;   in Loop: Header=BB12_80 Depth=3
	s_and_not1_saveexec_b32 s84, s84
; %bb.88:                               ;   in Loop: Header=BB12_80 Depth=3
	v_xor_b32_e32 v48, 0x80000000, v48
	v_mov_b32_e32 v49, 0
	v_dual_mov_b32 v50, 0x3ff00000 :: v_dual_mov_b32 v53, 0
	v_dual_mov_b32 v54, 0 :: v_dual_mov_b32 v35, v47
	s_delay_alu instid0(VALU_DEP_4)
	v_mov_b32_e32 v36, v48
; %bb.89:                               ;   in Loop: Header=BB12_80 Depth=3
	s_or_b32 exec_lo, exec_lo, s84
.LBB12_90:                              ;   in Loop: Header=BB12_80 Depth=3
	s_delay_alu instid0(SALU_CYCLE_1)
	s_or_b32 exec_lo, exec_lo, s83
	s_cmp_eq_u32 s68, 0
	s_cbranch_scc1 .LBB12_79
; %bb.91:                               ;   in Loop: Header=BB12_80 Depth=3
	global_store_b64 v[45:46], v[35:36], off offset:8
	s_branch .LBB12_79
.LBB12_92:                              ;   in Loop: Header=BB12_53 Depth=2
	s_or_b32 exec_lo, exec_lo, s69
	ds_store_b64 v6, v[37:38]
.LBB12_93:                              ;   in Loop: Header=BB12_53 Depth=2
	s_or_b32 exec_lo, exec_lo, s67
	global_load_b64 v[43:44], v[33:34], off
.LBB12_94:                              ;   in Loop: Header=BB12_53 Depth=2
	s_or_b32 exec_lo, exec_lo, s66
	s_waitcnt vmcnt(0)
	v_add_f64 v[0:1], v[43:44], -v[37:38]
                                        ; implicit-def: $vgpr32
                                        ; implicit-def: $vgpr43_vgpr44
	global_store_b64 v[33:34], v[0:1], off
	global_store_b64 v[2:3], v[35:36], off
                                        ; implicit-def: $vgpr35_vgpr36
                                        ; implicit-def: $vgpr33_vgpr34
.LBB12_95:                              ;   in Loop: Header=BB12_53 Depth=2
	s_and_not1_saveexec_b32 s58, s3
	s_cbranch_execz .LBB12_132
; %bb.96:                               ;   in Loop: Header=BB12_53 Depth=2
	v_add_co_u32 v37, vcc_lo, s6, v35
	v_add_co_ci_u32_e32 v38, vcc_lo, s70, v36, vcc_lo
                                        ; implicit-def: $vgpr47_vgpr48
	global_load_b64 v[0:1], v[33:34], off offset:8
	global_load_b64 v[45:46], v[37:38], off
	s_waitcnt vmcnt(1)
	v_add_f64 v[41:42], v[43:44], -v[0:1]
	s_waitcnt vmcnt(0)
	v_add_f64 v[39:40], v[45:46], v[45:46]
	s_delay_alu instid0(VALU_DEP_1) | instskip(NEXT) | instid1(VALU_DEP_1)
	v_cmp_ngt_f64_e64 s3, |v[41:42]|, |v[39:40]|
	s_and_saveexec_b32 s59, s3
	s_delay_alu instid0(SALU_CYCLE_1)
	s_xor_b32 s3, exec_lo, s59
	s_cbranch_execz .LBB12_102
; %bb.97:                               ;   in Loop: Header=BB12_53 Depth=2
	v_cmp_nlt_f64_e64 s59, |v[41:42]|, |v[39:40]|
                                        ; implicit-def: $vgpr47_vgpr48
	s_delay_alu instid0(VALU_DEP_1) | instskip(NEXT) | instid1(SALU_CYCLE_1)
	s_and_saveexec_b32 s60, s59
	s_xor_b32 s59, exec_lo, s60
; %bb.98:                               ;   in Loop: Header=BB12_53 Depth=2
	v_mul_f64 v[47:48], |v[39:40]|, s[54:55]
; %bb.99:                               ;   in Loop: Header=BB12_53 Depth=2
	s_and_not1_saveexec_b32 s59, s59
	s_cbranch_execz .LBB12_101
; %bb.100:                              ;   in Loop: Header=BB12_53 Depth=2
	v_dual_mov_b32 v2, v41 :: v_dual_and_b32 v3, 0x7fffffff, v42
	v_dual_mov_b32 v47, v39 :: v_dual_and_b32 v48, 0x7fffffff, v40
	s_delay_alu instid0(VALU_DEP_1) | instskip(SKIP_1) | instid1(VALU_DEP_2)
	v_div_scale_f64 v[49:50], null, v[47:48], v[47:48], v[2:3]
	v_div_scale_f64 v[2:3], vcc_lo, v[2:3], v[47:48], v[2:3]
	v_rcp_f64_e32 v[51:52], v[49:50]
	s_waitcnt_depctr 0xfff
	v_fma_f64 v[53:54], -v[49:50], v[51:52], 1.0
	s_delay_alu instid0(VALU_DEP_1) | instskip(NEXT) | instid1(VALU_DEP_1)
	v_fma_f64 v[51:52], v[51:52], v[53:54], v[51:52]
	v_fma_f64 v[53:54], -v[49:50], v[51:52], 1.0
	s_delay_alu instid0(VALU_DEP_1) | instskip(NEXT) | instid1(VALU_DEP_1)
	v_fma_f64 v[47:48], v[51:52], v[53:54], v[51:52]
	v_mul_f64 v[51:52], v[2:3], v[47:48]
	s_delay_alu instid0(VALU_DEP_1) | instskip(NEXT) | instid1(VALU_DEP_1)
	v_fma_f64 v[2:3], -v[49:50], v[51:52], v[2:3]
	v_div_fmas_f64 v[2:3], v[2:3], v[47:48], v[51:52]
	s_delay_alu instid0(VALU_DEP_1) | instskip(NEXT) | instid1(VALU_DEP_1)
	v_div_fixup_f64 v[2:3], v[2:3], |v[39:40]|, |v[41:42]|
	v_fma_f64 v[2:3], v[2:3], v[2:3], 1.0
	s_delay_alu instid0(VALU_DEP_1) | instskip(SKIP_1) | instid1(VALU_DEP_1)
	v_cmp_gt_f64_e32 vcc_lo, 0x10000000, v[2:3]
	v_cndmask_b32_e64 v7, 0, 1, vcc_lo
	v_lshlrev_b32_e32 v7, 8, v7
	s_delay_alu instid0(VALU_DEP_1) | instskip(SKIP_1) | instid1(VALU_DEP_2)
	v_ldexp_f64 v[2:3], v[2:3], v7
	v_cndmask_b32_e64 v7, 0, 0xffffff80, vcc_lo
	v_rsq_f64_e32 v[47:48], v[2:3]
	v_cmp_class_f64_e64 vcc_lo, v[2:3], 0x260
	s_waitcnt_depctr 0xfff
	v_mul_f64 v[49:50], v[2:3], v[47:48]
	v_mul_f64 v[47:48], v[47:48], 0.5
	s_delay_alu instid0(VALU_DEP_1) | instskip(NEXT) | instid1(VALU_DEP_1)
	v_fma_f64 v[51:52], -v[47:48], v[49:50], 0.5
	v_fma_f64 v[49:50], v[49:50], v[51:52], v[49:50]
	v_fma_f64 v[47:48], v[47:48], v[51:52], v[47:48]
	s_delay_alu instid0(VALU_DEP_2) | instskip(NEXT) | instid1(VALU_DEP_1)
	v_fma_f64 v[51:52], -v[49:50], v[49:50], v[2:3]
	v_fma_f64 v[49:50], v[51:52], v[47:48], v[49:50]
	s_delay_alu instid0(VALU_DEP_1) | instskip(NEXT) | instid1(VALU_DEP_1)
	v_fma_f64 v[51:52], -v[49:50], v[49:50], v[2:3]
	v_fma_f64 v[47:48], v[51:52], v[47:48], v[49:50]
	s_delay_alu instid0(VALU_DEP_1) | instskip(NEXT) | instid1(VALU_DEP_1)
	v_ldexp_f64 v[47:48], v[47:48], v7
	v_dual_cndmask_b32 v2, v47, v2 :: v_dual_cndmask_b32 v3, v48, v3
	s_delay_alu instid0(VALU_DEP_1)
	v_mul_f64 v[47:48], |v[39:40]|, v[2:3]
.LBB12_101:                             ;   in Loop: Header=BB12_53 Depth=2
	s_or_b32 exec_lo, exec_lo, s59
.LBB12_102:                             ;   in Loop: Header=BB12_53 Depth=2
	s_and_not1_saveexec_b32 s3, s3
	s_cbranch_execz .LBB12_104
; %bb.103:                              ;   in Loop: Header=BB12_53 Depth=2
	v_dual_mov_b32 v2, v39 :: v_dual_and_b32 v3, 0x7fffffff, v40
	v_dual_mov_b32 v47, v41 :: v_dual_and_b32 v48, 0x7fffffff, v42
	s_delay_alu instid0(VALU_DEP_1) | instskip(SKIP_1) | instid1(VALU_DEP_2)
	v_div_scale_f64 v[49:50], null, v[47:48], v[47:48], v[2:3]
	v_div_scale_f64 v[2:3], vcc_lo, v[2:3], v[47:48], v[2:3]
	v_rcp_f64_e32 v[51:52], v[49:50]
	s_waitcnt_depctr 0xfff
	v_fma_f64 v[53:54], -v[49:50], v[51:52], 1.0
	s_delay_alu instid0(VALU_DEP_1) | instskip(NEXT) | instid1(VALU_DEP_1)
	v_fma_f64 v[51:52], v[51:52], v[53:54], v[51:52]
	v_fma_f64 v[53:54], -v[49:50], v[51:52], 1.0
	s_delay_alu instid0(VALU_DEP_1) | instskip(NEXT) | instid1(VALU_DEP_1)
	v_fma_f64 v[47:48], v[51:52], v[53:54], v[51:52]
	v_mul_f64 v[51:52], v[2:3], v[47:48]
	s_delay_alu instid0(VALU_DEP_1) | instskip(NEXT) | instid1(VALU_DEP_1)
	v_fma_f64 v[2:3], -v[49:50], v[51:52], v[2:3]
	v_div_fmas_f64 v[2:3], v[2:3], v[47:48], v[51:52]
	s_delay_alu instid0(VALU_DEP_1) | instskip(NEXT) | instid1(VALU_DEP_1)
	v_div_fixup_f64 v[2:3], v[2:3], |v[41:42]|, |v[39:40]|
	v_fma_f64 v[2:3], v[2:3], v[2:3], 1.0
	s_delay_alu instid0(VALU_DEP_1) | instskip(SKIP_1) | instid1(VALU_DEP_1)
	v_cmp_gt_f64_e32 vcc_lo, 0x10000000, v[2:3]
	v_cndmask_b32_e64 v7, 0, 1, vcc_lo
	v_lshlrev_b32_e32 v7, 8, v7
	s_delay_alu instid0(VALU_DEP_1) | instskip(SKIP_1) | instid1(VALU_DEP_2)
	v_ldexp_f64 v[2:3], v[2:3], v7
	v_cndmask_b32_e64 v7, 0, 0xffffff80, vcc_lo
	v_rsq_f64_e32 v[47:48], v[2:3]
	v_cmp_class_f64_e64 vcc_lo, v[2:3], 0x260
	s_waitcnt_depctr 0xfff
	v_mul_f64 v[49:50], v[2:3], v[47:48]
	v_mul_f64 v[47:48], v[47:48], 0.5
	s_delay_alu instid0(VALU_DEP_1) | instskip(NEXT) | instid1(VALU_DEP_1)
	v_fma_f64 v[51:52], -v[47:48], v[49:50], 0.5
	v_fma_f64 v[49:50], v[49:50], v[51:52], v[49:50]
	v_fma_f64 v[47:48], v[47:48], v[51:52], v[47:48]
	s_delay_alu instid0(VALU_DEP_2) | instskip(NEXT) | instid1(VALU_DEP_1)
	v_fma_f64 v[51:52], -v[49:50], v[49:50], v[2:3]
	v_fma_f64 v[49:50], v[51:52], v[47:48], v[49:50]
	s_delay_alu instid0(VALU_DEP_1) | instskip(NEXT) | instid1(VALU_DEP_1)
	v_fma_f64 v[51:52], -v[49:50], v[49:50], v[2:3]
	v_fma_f64 v[47:48], v[51:52], v[47:48], v[49:50]
	s_delay_alu instid0(VALU_DEP_1) | instskip(NEXT) | instid1(VALU_DEP_1)
	v_ldexp_f64 v[47:48], v[47:48], v7
	v_dual_cndmask_b32 v2, v47, v2 :: v_dual_cndmask_b32 v3, v48, v3
	s_delay_alu instid0(VALU_DEP_1)
	v_mul_f64 v[47:48], |v[41:42]|, v[2:3]
.LBB12_104:                             ;   in Loop: Header=BB12_53 Depth=2
	s_or_b32 exec_lo, exec_lo, s3
	v_cmp_gt_f64_e64 vcc_lo, |v[43:44]|, |v[0:1]|
	v_add_f64 v[51:52], v[43:44], v[0:1]
	s_mov_b32 s59, exec_lo
                                        ; implicit-def: $vgpr7
                                        ; implicit-def: $vgpr2_vgpr3
	v_dual_cndmask_b32 v50, v44, v1 :: v_dual_cndmask_b32 v49, v43, v0
	v_dual_cndmask_b32 v44, v1, v44 :: v_dual_cndmask_b32 v43, v0, v43
	s_delay_alu instid0(VALU_DEP_3)
	v_cmpx_ngt_f64_e32 0, v[51:52]
	s_xor_b32 s59, exec_lo, s59
	s_cbranch_execz .LBB12_110
; %bb.105:                              ;   in Loop: Header=BB12_53 Depth=2
	s_mov_b32 s60, exec_lo
                                        ; implicit-def: $sgpr3
                                        ; implicit-def: $vgpr2_vgpr3
	v_cmpx_nlt_f64_e32 0, v[51:52]
	s_xor_b32 s60, exec_lo, s60
; %bb.106:                              ;   in Loop: Header=BB12_53 Depth=2
	v_mul_f64 v[0:1], v[47:48], 0.5
	v_mul_f64 v[2:3], v[47:48], -0.5
	s_mov_b32 s3, 1
                                        ; implicit-def: $vgpr51_vgpr52
                                        ; implicit-def: $vgpr43_vgpr44
                                        ; implicit-def: $vgpr45_vgpr46
                                        ; implicit-def: $vgpr49_vgpr50
; %bb.107:                              ;   in Loop: Header=BB12_53 Depth=2
	s_or_saveexec_b32 s60, s60
	v_mov_b32_e32 v7, s3
	s_xor_b32 exec_lo, exec_lo, s60
	s_cbranch_execz .LBB12_109
; %bb.108:                              ;   in Loop: Header=BB12_53 Depth=2
	v_add_f64 v[0:1], v[51:52], v[47:48]
	v_mov_b32_e32 v7, 1
	s_delay_alu instid0(VALU_DEP_2) | instskip(NEXT) | instid1(VALU_DEP_1)
	v_mul_f64 v[0:1], v[0:1], 0.5
	v_div_scale_f64 v[2:3], null, v[0:1], v[0:1], v[43:44]
	v_div_scale_f64 v[51:52], null, v[0:1], v[0:1], v[45:46]
	v_div_scale_f64 v[64:65], vcc_lo, v[43:44], v[0:1], v[43:44]
	s_delay_alu instid0(VALU_DEP_3) | instskip(NEXT) | instid1(VALU_DEP_2)
	v_rcp_f64_e32 v[53:54], v[2:3]
	v_rcp_f64_e32 v[58:59], v[51:52]
	s_waitcnt_depctr 0xfff
	v_fma_f64 v[60:61], -v[2:3], v[53:54], 1.0
	v_fma_f64 v[62:63], -v[51:52], v[58:59], 1.0
	s_delay_alu instid0(VALU_DEP_2) | instskip(NEXT) | instid1(VALU_DEP_2)
	v_fma_f64 v[53:54], v[53:54], v[60:61], v[53:54]
	v_fma_f64 v[58:59], v[58:59], v[62:63], v[58:59]
	s_delay_alu instid0(VALU_DEP_2) | instskip(NEXT) | instid1(VALU_DEP_2)
	v_fma_f64 v[60:61], -v[2:3], v[53:54], 1.0
	v_fma_f64 v[62:63], -v[51:52], v[58:59], 1.0
	s_delay_alu instid0(VALU_DEP_2) | instskip(SKIP_1) | instid1(VALU_DEP_3)
	v_fma_f64 v[53:54], v[53:54], v[60:61], v[53:54]
	v_div_scale_f64 v[60:61], s3, v[45:46], v[0:1], v[45:46]
	v_fma_f64 v[58:59], v[58:59], v[62:63], v[58:59]
	s_delay_alu instid0(VALU_DEP_3) | instskip(NEXT) | instid1(VALU_DEP_2)
	v_mul_f64 v[62:63], v[64:65], v[53:54]
	v_mul_f64 v[66:67], v[60:61], v[58:59]
	s_delay_alu instid0(VALU_DEP_2) | instskip(NEXT) | instid1(VALU_DEP_2)
	v_fma_f64 v[2:3], -v[2:3], v[62:63], v[64:65]
	v_fma_f64 v[51:52], -v[51:52], v[66:67], v[60:61]
	s_delay_alu instid0(VALU_DEP_2) | instskip(SKIP_1) | instid1(VALU_DEP_2)
	v_div_fmas_f64 v[2:3], v[2:3], v[53:54], v[62:63]
	s_mov_b32 vcc_lo, s3
	v_div_fmas_f64 v[51:52], v[51:52], v[58:59], v[66:67]
	s_delay_alu instid0(VALU_DEP_2) | instskip(NEXT) | instid1(VALU_DEP_2)
	v_div_fixup_f64 v[2:3], v[2:3], v[0:1], v[43:44]
	v_div_fixup_f64 v[51:52], v[51:52], v[0:1], v[45:46]
	s_delay_alu instid0(VALU_DEP_1) | instskip(NEXT) | instid1(VALU_DEP_1)
	v_mul_f64 v[43:44], v[45:46], v[51:52]
	v_fma_f64 v[2:3], v[49:50], v[2:3], -v[43:44]
.LBB12_109:                             ;   in Loop: Header=BB12_53 Depth=2
	s_or_b32 exec_lo, exec_lo, s60
                                        ; implicit-def: $vgpr51_vgpr52
                                        ; implicit-def: $vgpr43_vgpr44
                                        ; implicit-def: $vgpr45_vgpr46
                                        ; implicit-def: $vgpr49_vgpr50
.LBB12_110:                             ;   in Loop: Header=BB12_53 Depth=2
	s_and_not1_saveexec_b32 s59, s59
	s_cbranch_execz .LBB12_112
; %bb.111:                              ;   in Loop: Header=BB12_53 Depth=2
	v_add_f64 v[0:1], v[51:52], -v[47:48]
	v_mov_b32_e32 v7, -1
	s_delay_alu instid0(VALU_DEP_2) | instskip(NEXT) | instid1(VALU_DEP_1)
	v_mul_f64 v[0:1], v[0:1], 0.5
	v_div_scale_f64 v[2:3], null, v[0:1], v[0:1], v[43:44]
	v_div_scale_f64 v[51:52], null, v[0:1], v[0:1], v[45:46]
	v_div_scale_f64 v[64:65], vcc_lo, v[43:44], v[0:1], v[43:44]
	s_delay_alu instid0(VALU_DEP_3) | instskip(NEXT) | instid1(VALU_DEP_2)
	v_rcp_f64_e32 v[53:54], v[2:3]
	v_rcp_f64_e32 v[58:59], v[51:52]
	s_waitcnt_depctr 0xfff
	v_fma_f64 v[60:61], -v[2:3], v[53:54], 1.0
	v_fma_f64 v[62:63], -v[51:52], v[58:59], 1.0
	s_delay_alu instid0(VALU_DEP_2) | instskip(NEXT) | instid1(VALU_DEP_2)
	v_fma_f64 v[53:54], v[53:54], v[60:61], v[53:54]
	v_fma_f64 v[58:59], v[58:59], v[62:63], v[58:59]
	s_delay_alu instid0(VALU_DEP_2) | instskip(NEXT) | instid1(VALU_DEP_2)
	v_fma_f64 v[60:61], -v[2:3], v[53:54], 1.0
	v_fma_f64 v[62:63], -v[51:52], v[58:59], 1.0
	s_delay_alu instid0(VALU_DEP_2) | instskip(SKIP_1) | instid1(VALU_DEP_3)
	v_fma_f64 v[53:54], v[53:54], v[60:61], v[53:54]
	v_div_scale_f64 v[60:61], s3, v[45:46], v[0:1], v[45:46]
	v_fma_f64 v[58:59], v[58:59], v[62:63], v[58:59]
	s_delay_alu instid0(VALU_DEP_3) | instskip(NEXT) | instid1(VALU_DEP_2)
	v_mul_f64 v[62:63], v[64:65], v[53:54]
	v_mul_f64 v[66:67], v[60:61], v[58:59]
	s_delay_alu instid0(VALU_DEP_2) | instskip(NEXT) | instid1(VALU_DEP_2)
	v_fma_f64 v[2:3], -v[2:3], v[62:63], v[64:65]
	v_fma_f64 v[51:52], -v[51:52], v[66:67], v[60:61]
	s_delay_alu instid0(VALU_DEP_2) | instskip(SKIP_1) | instid1(VALU_DEP_2)
	v_div_fmas_f64 v[2:3], v[2:3], v[53:54], v[62:63]
	s_mov_b32 vcc_lo, s3
	v_div_fmas_f64 v[51:52], v[51:52], v[58:59], v[66:67]
	s_delay_alu instid0(VALU_DEP_2) | instskip(NEXT) | instid1(VALU_DEP_2)
	v_div_fixup_f64 v[2:3], v[2:3], v[0:1], v[43:44]
	v_div_fixup_f64 v[51:52], v[51:52], v[0:1], v[45:46]
	s_delay_alu instid0(VALU_DEP_1) | instskip(NEXT) | instid1(VALU_DEP_1)
	v_mul_f64 v[43:44], v[45:46], v[51:52]
	v_fma_f64 v[2:3], v[49:50], v[2:3], -v[43:44]
.LBB12_112:                             ;   in Loop: Header=BB12_53 Depth=2
	s_or_b32 exec_lo, exec_lo, s59
	s_delay_alu instid0(SALU_CYCLE_1)
	s_mov_b32 s59, exec_lo
                                        ; implicit-def: $vgpr43_vgpr44
                                        ; implicit-def: $sgpr3
	v_cmpx_le_f64_e32 0, v[41:42]
	s_xor_b32 s59, exec_lo, s59
; %bb.113:                              ;   in Loop: Header=BB12_53 Depth=2
	v_add_f64 v[43:44], v[41:42], v[47:48]
	s_mov_b32 s3, 1
                                        ; implicit-def: $vgpr41_vgpr42
                                        ; implicit-def: $vgpr47_vgpr48
; %bb.114:                              ;   in Loop: Header=BB12_53 Depth=2
	s_or_saveexec_b32 s59, s59
	v_mov_b32_e32 v49, s3
	s_xor_b32 exec_lo, exec_lo, s59
; %bb.115:                              ;   in Loop: Header=BB12_53 Depth=2
	v_add_f64 v[43:44], v[41:42], -v[47:48]
	v_mov_b32_e32 v49, -1
; %bb.116:                              ;   in Loop: Header=BB12_53 Depth=2
	s_or_b32 exec_lo, exec_lo, s59
	s_delay_alu instid0(VALU_DEP_2) | instskip(NEXT) | instid1(VALU_DEP_1)
	v_cmp_ngt_f64_e64 s3, |v[43:44]|, |v[39:40]|
                                        ; implicit-def: $vgpr41_vgpr42
                                        ; implicit-def: $vgpr45_vgpr46
	s_and_saveexec_b32 s59, s3
	s_delay_alu instid0(SALU_CYCLE_1)
	s_xor_b32 s3, exec_lo, s59
	s_cbranch_execz .LBB12_120
; %bb.117:                              ;   in Loop: Header=BB12_53 Depth=2
	v_mov_b32_e32 v41, 0
	v_dual_mov_b32 v42, 0x3ff00000 :: v_dual_mov_b32 v45, 0
	v_mov_b32_e32 v46, 0
	s_mov_b32 s59, exec_lo
	v_cmpx_neq_f64_e32 0, v[39:40]
	s_cbranch_execz .LBB12_119
; %bb.118:                              ;   in Loop: Header=BB12_53 Depth=2
	v_div_scale_f64 v[41:42], null, v[39:40], v[39:40], -v[43:44]
	v_div_scale_f64 v[50:51], vcc_lo, -v[43:44], v[39:40], -v[43:44]
	s_delay_alu instid0(VALU_DEP_2) | instskip(SKIP_2) | instid1(VALU_DEP_1)
	v_rcp_f64_e32 v[45:46], v[41:42]
	s_waitcnt_depctr 0xfff
	v_fma_f64 v[47:48], -v[41:42], v[45:46], 1.0
	v_fma_f64 v[45:46], v[45:46], v[47:48], v[45:46]
	s_delay_alu instid0(VALU_DEP_1) | instskip(NEXT) | instid1(VALU_DEP_1)
	v_fma_f64 v[47:48], -v[41:42], v[45:46], 1.0
	v_fma_f64 v[45:46], v[45:46], v[47:48], v[45:46]
	s_delay_alu instid0(VALU_DEP_1) | instskip(NEXT) | instid1(VALU_DEP_1)
	v_mul_f64 v[47:48], v[50:51], v[45:46]
	v_fma_f64 v[41:42], -v[41:42], v[47:48], v[50:51]
	s_delay_alu instid0(VALU_DEP_1) | instskip(NEXT) | instid1(VALU_DEP_1)
	v_div_fmas_f64 v[41:42], v[41:42], v[45:46], v[47:48]
	v_div_fixup_f64 v[39:40], v[41:42], v[39:40], -v[43:44]
	s_delay_alu instid0(VALU_DEP_1) | instskip(NEXT) | instid1(VALU_DEP_1)
	v_fma_f64 v[41:42], v[39:40], v[39:40], 1.0
	v_cmp_gt_f64_e32 vcc_lo, 0x10000000, v[41:42]
	v_cndmask_b32_e64 v43, 0, 1, vcc_lo
	s_delay_alu instid0(VALU_DEP_1) | instskip(NEXT) | instid1(VALU_DEP_1)
	v_lshlrev_b32_e32 v43, 8, v43
	v_ldexp_f64 v[41:42], v[41:42], v43
	s_delay_alu instid0(VALU_DEP_1) | instskip(SKIP_3) | instid1(VALU_DEP_1)
	v_rsq_f64_e32 v[43:44], v[41:42]
	s_waitcnt_depctr 0xfff
	v_mul_f64 v[45:46], v[41:42], v[43:44]
	v_mul_f64 v[43:44], v[43:44], 0.5
	v_fma_f64 v[47:48], -v[43:44], v[45:46], 0.5
	s_delay_alu instid0(VALU_DEP_1) | instskip(SKIP_1) | instid1(VALU_DEP_2)
	v_fma_f64 v[45:46], v[45:46], v[47:48], v[45:46]
	v_fma_f64 v[43:44], v[43:44], v[47:48], v[43:44]
	v_fma_f64 v[47:48], -v[45:46], v[45:46], v[41:42]
	s_delay_alu instid0(VALU_DEP_1) | instskip(NEXT) | instid1(VALU_DEP_1)
	v_fma_f64 v[45:46], v[47:48], v[43:44], v[45:46]
	v_fma_f64 v[47:48], -v[45:46], v[45:46], v[41:42]
	s_delay_alu instid0(VALU_DEP_1) | instskip(SKIP_2) | instid1(VALU_DEP_2)
	v_fma_f64 v[43:44], v[47:48], v[43:44], v[45:46]
	v_cndmask_b32_e64 v45, 0, 0xffffff80, vcc_lo
	v_cmp_class_f64_e64 vcc_lo, v[41:42], 0x260
	v_ldexp_f64 v[43:44], v[43:44], v45
	s_delay_alu instid0(VALU_DEP_1) | instskip(NEXT) | instid1(VALU_DEP_1)
	v_dual_cndmask_b32 v42, v44, v42 :: v_dual_cndmask_b32 v41, v43, v41
	v_div_scale_f64 v[43:44], null, v[41:42], v[41:42], 1.0
	s_delay_alu instid0(VALU_DEP_1) | instskip(SKIP_2) | instid1(VALU_DEP_1)
	v_rcp_f64_e32 v[45:46], v[43:44]
	s_waitcnt_depctr 0xfff
	v_fma_f64 v[47:48], -v[43:44], v[45:46], 1.0
	v_fma_f64 v[45:46], v[45:46], v[47:48], v[45:46]
	s_delay_alu instid0(VALU_DEP_1) | instskip(NEXT) | instid1(VALU_DEP_1)
	v_fma_f64 v[47:48], -v[43:44], v[45:46], 1.0
	v_fma_f64 v[45:46], v[45:46], v[47:48], v[45:46]
	v_div_scale_f64 v[47:48], vcc_lo, 1.0, v[41:42], 1.0
	s_delay_alu instid0(VALU_DEP_1) | instskip(NEXT) | instid1(VALU_DEP_1)
	v_mul_f64 v[50:51], v[47:48], v[45:46]
	v_fma_f64 v[43:44], -v[43:44], v[50:51], v[47:48]
	s_delay_alu instid0(VALU_DEP_1) | instskip(NEXT) | instid1(VALU_DEP_1)
	v_div_fmas_f64 v[43:44], v[43:44], v[45:46], v[50:51]
	v_div_fixup_f64 v[41:42], v[43:44], v[41:42], 1.0
	s_delay_alu instid0(VALU_DEP_1)
	v_mul_f64 v[45:46], v[39:40], v[41:42]
.LBB12_119:                             ;   in Loop: Header=BB12_53 Depth=2
	s_or_b32 exec_lo, exec_lo, s59
                                        ; implicit-def: $vgpr43_vgpr44
                                        ; implicit-def: $vgpr39_vgpr40
.LBB12_120:                             ;   in Loop: Header=BB12_53 Depth=2
	s_and_not1_saveexec_b32 s3, s3
	s_cbranch_execz .LBB12_122
; %bb.121:                              ;   in Loop: Header=BB12_53 Depth=2
	v_div_scale_f64 v[41:42], null, v[43:44], v[43:44], -v[39:40]
	v_div_scale_f64 v[50:51], vcc_lo, -v[39:40], v[43:44], -v[39:40]
	s_delay_alu instid0(VALU_DEP_2) | instskip(SKIP_2) | instid1(VALU_DEP_1)
	v_rcp_f64_e32 v[45:46], v[41:42]
	s_waitcnt_depctr 0xfff
	v_fma_f64 v[47:48], -v[41:42], v[45:46], 1.0
	v_fma_f64 v[45:46], v[45:46], v[47:48], v[45:46]
	s_delay_alu instid0(VALU_DEP_1) | instskip(NEXT) | instid1(VALU_DEP_1)
	v_fma_f64 v[47:48], -v[41:42], v[45:46], 1.0
	v_fma_f64 v[45:46], v[45:46], v[47:48], v[45:46]
	s_delay_alu instid0(VALU_DEP_1) | instskip(NEXT) | instid1(VALU_DEP_1)
	v_mul_f64 v[47:48], v[50:51], v[45:46]
	v_fma_f64 v[41:42], -v[41:42], v[47:48], v[50:51]
	s_delay_alu instid0(VALU_DEP_1) | instskip(NEXT) | instid1(VALU_DEP_1)
	v_div_fmas_f64 v[41:42], v[41:42], v[45:46], v[47:48]
	v_div_fixup_f64 v[39:40], v[41:42], v[43:44], -v[39:40]
	s_delay_alu instid0(VALU_DEP_1) | instskip(NEXT) | instid1(VALU_DEP_1)
	v_fma_f64 v[41:42], v[39:40], v[39:40], 1.0
	v_cmp_gt_f64_e32 vcc_lo, 0x10000000, v[41:42]
	v_cndmask_b32_e64 v43, 0, 1, vcc_lo
	s_delay_alu instid0(VALU_DEP_1) | instskip(NEXT) | instid1(VALU_DEP_1)
	v_lshlrev_b32_e32 v43, 8, v43
	v_ldexp_f64 v[41:42], v[41:42], v43
	s_delay_alu instid0(VALU_DEP_1) | instskip(SKIP_3) | instid1(VALU_DEP_1)
	v_rsq_f64_e32 v[43:44], v[41:42]
	s_waitcnt_depctr 0xfff
	v_mul_f64 v[45:46], v[41:42], v[43:44]
	v_mul_f64 v[43:44], v[43:44], 0.5
	v_fma_f64 v[47:48], -v[43:44], v[45:46], 0.5
	s_delay_alu instid0(VALU_DEP_1) | instskip(SKIP_1) | instid1(VALU_DEP_2)
	v_fma_f64 v[45:46], v[45:46], v[47:48], v[45:46]
	v_fma_f64 v[43:44], v[43:44], v[47:48], v[43:44]
	v_fma_f64 v[47:48], -v[45:46], v[45:46], v[41:42]
	s_delay_alu instid0(VALU_DEP_1) | instskip(NEXT) | instid1(VALU_DEP_1)
	v_fma_f64 v[45:46], v[47:48], v[43:44], v[45:46]
	v_fma_f64 v[47:48], -v[45:46], v[45:46], v[41:42]
	s_delay_alu instid0(VALU_DEP_1) | instskip(SKIP_2) | instid1(VALU_DEP_2)
	v_fma_f64 v[43:44], v[47:48], v[43:44], v[45:46]
	v_cndmask_b32_e64 v45, 0, 0xffffff80, vcc_lo
	v_cmp_class_f64_e64 vcc_lo, v[41:42], 0x260
	v_ldexp_f64 v[43:44], v[43:44], v45
	s_delay_alu instid0(VALU_DEP_1) | instskip(NEXT) | instid1(VALU_DEP_1)
	v_dual_cndmask_b32 v42, v44, v42 :: v_dual_cndmask_b32 v41, v43, v41
	v_div_scale_f64 v[43:44], null, v[41:42], v[41:42], 1.0
	s_delay_alu instid0(VALU_DEP_1) | instskip(SKIP_2) | instid1(VALU_DEP_1)
	v_rcp_f64_e32 v[45:46], v[43:44]
	s_waitcnt_depctr 0xfff
	v_fma_f64 v[47:48], -v[43:44], v[45:46], 1.0
	v_fma_f64 v[45:46], v[45:46], v[47:48], v[45:46]
	s_delay_alu instid0(VALU_DEP_1) | instskip(NEXT) | instid1(VALU_DEP_1)
	v_fma_f64 v[47:48], -v[43:44], v[45:46], 1.0
	v_fma_f64 v[45:46], v[45:46], v[47:48], v[45:46]
	v_div_scale_f64 v[47:48], vcc_lo, 1.0, v[41:42], 1.0
	s_delay_alu instid0(VALU_DEP_1) | instskip(NEXT) | instid1(VALU_DEP_1)
	v_mul_f64 v[50:51], v[47:48], v[45:46]
	v_fma_f64 v[43:44], -v[43:44], v[50:51], v[47:48]
	s_delay_alu instid0(VALU_DEP_1) | instskip(NEXT) | instid1(VALU_DEP_1)
	v_div_fmas_f64 v[43:44], v[43:44], v[45:46], v[50:51]
	v_div_fixup_f64 v[45:46], v[43:44], v[41:42], 1.0
	s_delay_alu instid0(VALU_DEP_1)
	v_mul_f64 v[41:42], v[39:40], v[45:46]
.LBB12_122:                             ;   in Loop: Header=BB12_53 Depth=2
	s_or_b32 exec_lo, exec_lo, s3
	v_cmp_eq_u32_e32 vcc_lo, v7, v49
	s_delay_alu instid0(VALU_DEP_2) | instskip(SKIP_1) | instid1(VALU_DEP_1)
	v_xor_b32_e32 v7, 0x80000000, v46
	v_add_co_u32 v35, s3, s73, v35
	v_add_co_ci_u32_e64 v36, s3, s74, v36, s3
	v_dual_cndmask_b32 v40, v46, v42 :: v_dual_cndmask_b32 v39, v45, v41
	s_delay_alu instid0(VALU_DEP_4) | instskip(NEXT) | instid1(VALU_DEP_4)
	v_dual_cndmask_b32 v42, v42, v7 :: v_dual_cndmask_b32 v41, v41, v45
	v_add_co_u32 v43, vcc_lo, v35, s46
	v_dual_mov_b32 v7, v6 :: v_dual_add_nc_u32 v32, 2, v32
	v_add_co_ci_u32_e32 v44, vcc_lo, s47, v36, vcc_lo
	s_clause 0x1
	global_store_b64 v[35:36], v[41:42], off
	global_store_b64 v[43:44], v[39:40], off offset:-8
	global_store_b128 v[33:34], v[0:3], off
	global_store_b64 v[37:38], v[6:7], off
	ds_store_b32 v6, v32 offset:16
	s_or_b32 exec_lo, exec_lo, s58
                                        ; implicit-def: $vgpr1
.LBB12_123:                             ;   in Loop: Header=BB12_53 Depth=2
	s_and_not1_saveexec_b32 s3, s56
	s_cbranch_execz .LBB12_125
.LBB12_124:                             ;   in Loop: Header=BB12_53 Depth=2
	ds_store_b32 v6, v1 offset:16
.LBB12_125:                             ;   in Loop: Header=BB12_53 Depth=2
	s_or_b32 exec_lo, exec_lo, s3
.LBB12_126:                             ;   in Loop: Header=BB12_53 Depth=2
	s_delay_alu instid0(SALU_CYCLE_1)
	s_or_b32 exec_lo, exec_lo, s35
	s_waitcnt lgkmcnt(0)
	s_waitcnt_vscnt null, 0x0
	s_barrier
	buffer_gl0_inv
	ds_load_b64 v[0:1], v6 offset:16
	s_waitcnt lgkmcnt(0)
	v_readfirstlane_b32 s3, v1
	s_delay_alu instid0(VALU_DEP_1)
	v_cmp_eq_u32_e32 vcc_lo, s3, v0
	v_mov_b32_e32 v32, s3
	s_cbranch_vccnz .LBB12_52
; %bb.127:                              ;   in Loop: Header=BB12_53 Depth=2
	s_and_saveexec_b32 s35, s0
	s_cbranch_execz .LBB12_51
; %bb.128:                              ;   in Loop: Header=BB12_53 Depth=2
	ds_load_b32 v0, v6 offset:28
	v_mov_b32_e32 v32, v4
	s_waitcnt lgkmcnt(0)
	v_readfirstlane_b32 s56, v0
	v_ashrrev_i32_e32 v1, 31, v0
	s_delay_alu instid0(VALU_DEP_2) | instskip(NEXT) | instid1(VALU_DEP_1)
	s_mul_i32 s58, s56, s7
	v_lshlrev_b64 v[0:1], 3, v[0:1]
	s_ashr_i32 s59, s58, 31
	s_delay_alu instid0(SALU_CYCLE_1) | instskip(NEXT) | instid1(SALU_CYCLE_1)
	s_lshl_b64 s[64:65], s[58:59], 3
	s_add_u32 s58, s71, s64
	s_addc_u32 s59, s72, s65
	s_sub_i32 s60, s3, s56
	s_delay_alu instid0(SALU_CYCLE_1) | instskip(SKIP_1) | instid1(SALU_CYCLE_1)
	s_mul_hi_i32 s63, s60, s40
	s_mul_i32 s62, s60, s40
	s_lshl_b64 s[62:63], s[62:63], 3
	s_delay_alu instid0(SALU_CYCLE_1) | instskip(SKIP_4) | instid1(SALU_CYCLE_1)
	s_add_u32 s61, s58, s62
	s_addc_u32 s62, s59, s63
	s_cmp_gt_i32 s60, 0
	s_cselect_b32 s63, -1, 0
	s_add_i32 s56, s60, -1
	s_lshl_b64 s[66:67], s[56:57], 3
	s_mul_i32 s3, s53, s56
	s_mul_hi_u32 s68, s52, s56
	s_mul_i32 s56, s52, s56
	v_add_co_u32 v2, vcc_lo, v0, s66
	s_add_i32 s68, s68, s3
	s_add_u32 s3, s56, s64
	v_add_co_ci_u32_e32 v3, vcc_lo, s67, v1, vcc_lo
	s_addc_u32 s56, s68, s65
	v_add_co_u32 v0, vcc_lo, v5, s3
	v_add_co_ci_u32_e32 v1, vcc_lo, s56, v55, vcc_lo
	v_add_co_u32 v2, vcc_lo, s73, v2
	v_add_co_ci_u32_e32 v3, vcc_lo, s74, v3, vcc_lo
	s_mov_b32 s56, 0
	s_branch .LBB12_130
.LBB12_129:                             ;   in Loop: Header=BB12_130 Depth=3
	v_add_nc_u32_e32 v32, s28, v32
	v_add_co_u32 v0, s3, v0, s48
	s_delay_alu instid0(VALU_DEP_1) | instskip(NEXT) | instid1(VALU_DEP_3)
	v_add_co_ci_u32_e64 v1, s3, s49, v1, s3
	v_cmp_le_i32_e32 vcc_lo, s24, v32
	s_waitcnt vmcnt(0)
	global_store_b64 v[35:36], v[33:34], off
	s_or_b32 s56, vcc_lo, s56
	s_delay_alu instid0(SALU_CYCLE_1)
	s_and_not1_b32 exec_lo, exec_lo, s56
	s_cbranch_execz .LBB12_51
.LBB12_130:                             ;   Parent Loop BB12_7 Depth=1
                                        ;     Parent Loop BB12_53 Depth=2
                                        ; =>    This Loop Header: Depth=3
                                        ;         Child Loop BB12_131 Depth 4
	v_ashrrev_i32_e32 v33, 31, v32
	v_dual_mov_b32 v38, v1 :: v_dual_mov_b32 v37, v0
	v_dual_mov_b32 v40, v3 :: v_dual_mov_b32 v39, v2
	s_delay_alu instid0(VALU_DEP_3) | instskip(SKIP_1) | instid1(VALU_DEP_1)
	v_lshlrev_b64 v[35:36], 3, v[32:33]
	s_mov_b32 s3, s60
	v_add_co_u32 v33, vcc_lo, s61, v35
	s_delay_alu instid0(VALU_DEP_2)
	v_add_co_ci_u32_e32 v34, vcc_lo, s62, v36, vcc_lo
	v_add_co_u32 v35, vcc_lo, s58, v35
	v_add_co_ci_u32_e32 v36, vcc_lo, s59, v36, vcc_lo
	global_load_b64 v[33:34], v[33:34], off
	s_and_not1_b32 vcc_lo, exec_lo, s63
	s_cbranch_vccnz .LBB12_129
	.p2align	6
.LBB12_131:                             ;   Parent Loop BB12_7 Depth=1
                                        ;     Parent Loop BB12_53 Depth=2
                                        ;       Parent Loop BB12_130 Depth=3
                                        ; =>      This Inner Loop Header: Depth=4
	v_add_co_u32 v41, vcc_lo, v39, s25
	v_add_co_ci_u32_e32 v42, vcc_lo, s29, v40, vcc_lo
	s_mul_i32 s65, s3, s41
	s_mul_hi_u32 s67, s3, s40
	global_load_b64 v[43:44], v[37:38], off
	s_clause 0x1
	global_load_b64 v[41:42], v[41:42], off
	global_load_b64 v[45:46], v[39:40], off
	s_mul_i32 s64, s3, s40
	s_add_i32 s65, s67, s65
	v_add_co_u32 v39, vcc_lo, v39, -8
	s_lshl_b64 s[64:65], s[64:65], 3
	v_add_co_ci_u32_e32 v40, vcc_lo, -1, v40, vcc_lo
	s_add_i32 s66, s3, -1
	v_add_co_u32 v37, vcc_lo, v37, s79
	v_add_co_ci_u32_e32 v38, vcc_lo, s80, v38, vcc_lo
	s_cmp_eq_u32 s66, 0
	s_waitcnt vmcnt(1)
	v_mul_f64 v[47:48], v[41:42], v[43:44]
	s_waitcnt vmcnt(0)
	v_mul_f64 v[43:44], v[45:46], v[43:44]
	s_delay_alu instid0(VALU_DEP_2) | instskip(NEXT) | instid1(VALU_DEP_2)
	v_fma_f64 v[45:46], v[33:34], v[45:46], -v[47:48]
	v_fma_f64 v[33:34], v[33:34], v[41:42], v[43:44]
	v_add_co_u32 v41, s3, v35, s64
	s_delay_alu instid0(VALU_DEP_1)
	v_add_co_ci_u32_e64 v42, s3, s65, v36, s3
	s_mov_b32 s3, s66
	global_store_b64 v[41:42], v[45:46], off
	s_cbranch_scc0 .LBB12_131
	s_branch .LBB12_129
.LBB12_132:                             ;   in Loop: Header=BB12_53 Depth=2
	s_or_b32 exec_lo, exec_lo, s58
                                        ; implicit-def: $vgpr1
	s_and_not1_saveexec_b32 s3, s56
	s_cbranch_execnz .LBB12_124
	s_branch .LBB12_125
.LBB12_133:                             ;   in Loop: Header=BB12_7 Depth=1
	v_dual_mov_b32 v31, v23 :: v_dual_mov_b32 v30, v22
	v_dual_mov_b32 v29, v21 :: v_dual_mov_b32 v28, v20
	v_mov_b32_e32 v25, v57
	s_branch .LBB12_6
.LBB12_134:                             ;   in Loop: Header=BB12_7 Depth=1
                                        ; implicit-def: $vgpr30_vgpr31
                                        ; implicit-def: $vgpr28_vgpr29
                                        ; implicit-def: $vgpr25
	s_branch .LBB12_137
.LBB12_135:                             ;   in Loop: Header=BB12_137 Depth=2
	s_or_b32 exec_lo, exec_lo, s3
	s_waitcnt_vscnt null, 0x0
	s_barrier
	buffer_gl0_inv
	ds_load_b32 v24, v6 offset:16
.LBB12_136:                             ;   in Loop: Header=BB12_137 Depth=2
	ds_load_b64 v[26:27], v6 offset:32
	s_waitcnt lgkmcnt(0)
	v_cmp_ge_i32_e32 vcc_lo, v24, v26
	v_cmp_gt_i32_e64 s1, s33, v27
	s_delay_alu instid0(VALU_DEP_1)
	s_and_b32 s1, vcc_lo, s1
.LBB12_137:                             ;   Parent Loop BB12_7 Depth=1
                                        ; =>  This Loop Header: Depth=2
                                        ;       Child Loop BB12_146 Depth 3
                                        ;       Child Loop BB12_165 Depth 3
	;; [unrolled: 1-line block ×3, first 2 shown]
                                        ;         Child Loop BB12_216 Depth 4
	s_delay_alu instid0(SALU_CYCLE_1)
	s_and_not1_b32 vcc_lo, exec_lo, s1
	s_cbranch_vccnz .LBB12_218
; %bb.138:                              ;   in Loop: Header=BB12_137 Depth=2
	s_and_saveexec_b32 s3, s2
	s_cbranch_execz .LBB12_211
; %bb.139:                              ;   in Loop: Header=BB12_137 Depth=2
	v_cmp_gt_i32_e32 vcc_lo, v24, v26
	s_mov_b32 s1, 0
	s_cbranch_vccnz .LBB12_143
; %bb.140:                              ;   in Loop: Header=BB12_137 Depth=2
	v_ashrrev_i32_e32 v25, 31, v24
	v_mov_b32_e32 v1, v24
	s_mov_b32 s35, -1
	s_delay_alu instid0(VALU_DEP_2)
	v_mov_b32_e32 v2, v25
	v_mov_b32_e32 v0, v24
	s_cbranch_execz .LBB12_144
; %bb.141:                              ;   in Loop: Header=BB12_137 Depth=2
	s_and_b32 vcc_lo, exec_lo, s35
	s_cbranch_vccz .LBB12_149
.LBB12_142:                             ;   in Loop: Header=BB12_137 Depth=2
	ds_store_2addr_b32 v6, v0, v24 offset0:5 offset1:7
	s_cbranch_execz .LBB12_150
	s_branch .LBB12_151
.LBB12_143:                             ;   in Loop: Header=BB12_137 Depth=2
	s_mov_b32 s35, 0
                                        ; implicit-def: $vgpr1_vgpr2
	v_mov_b32_e32 v0, v24
.LBB12_144:                             ;   in Loop: Header=BB12_137 Depth=2
	v_ashrrev_i32_e32 v25, 31, v24
	v_mov_b32_e32 v7, v24
	s_delay_alu instid0(VALU_DEP_2) | instskip(NEXT) | instid1(VALU_DEP_1)
	v_lshlrev_b64 v[2:3], 3, v[24:25]
	v_add_co_u32 v0, vcc_lo, s81, v2
	s_delay_alu instid0(VALU_DEP_2)
	v_add_co_ci_u32_e32 v1, vcc_lo, s82, v3, vcc_lo
	v_add_co_u32 v2, vcc_lo, s6, v2
	v_add_co_ci_u32_e32 v3, vcc_lo, s70, v3, vcc_lo
	s_branch .LBB12_146
	.p2align	6
.LBB12_145:                             ;   in Loop: Header=BB12_146 Depth=3
	v_add_nc_u32_e32 v7, -1, v56
	v_add_co_u32 v0, vcc_lo, v0, -8
	v_add_co_ci_u32_e32 v1, vcc_lo, -1, v1, vcc_lo
	s_delay_alu instid0(VALU_DEP_3) | instskip(SKIP_2) | instid1(VALU_DEP_2)
	v_cmp_le_i32_e64 s35, v7, v26
	s_mov_b32 s1, 0
	v_dual_mov_b32 v2, v10 :: v_dual_mov_b32 v3, v11
	s_and_not1_b32 vcc_lo, exec_lo, s35
	s_cbranch_vccz .LBB12_148
.LBB12_146:                             ;   Parent Loop BB12_7 Depth=1
                                        ;     Parent Loop BB12_137 Depth=2
                                        ; =>    This Inner Loop Header: Depth=3
	global_load_b128 v[10:13], v[0:1], off
	global_load_b64 v[28:29], v[2:3], off offset:-8
	v_mov_b32_e32 v56, v7
	s_waitcnt vmcnt(1)
	v_mul_f64 v[10:11], v[12:13], v[10:11]
	s_waitcnt vmcnt(0)
	v_mul_f64 v[12:13], v[28:29], v[28:29]
	s_delay_alu instid0(VALU_DEP_2) | instskip(NEXT) | instid1(VALU_DEP_1)
	v_mul_f64 v[10:11], v[8:9], |v[10:11]|
	v_cmp_le_f64_e64 s1, |v[12:13]|, v[10:11]
	v_add_co_u32 v10, vcc_lo, v2, -8
	v_add_co_ci_u32_e32 v11, vcc_lo, -1, v3, vcc_lo
	s_delay_alu instid0(VALU_DEP_3)
	s_and_b32 vcc_lo, exec_lo, s1
	s_cbranch_vccz .LBB12_145
; %bb.147:                              ;   in Loop: Header=BB12_137 Depth=2
	s_mov_b32 s1, -1
                                        ; implicit-def: $vgpr7
                                        ; implicit-def: $vgpr0_vgpr1
	s_delay_alu instid0(VALU_DEP_1)
	v_dual_mov_b32 v2, v10 :: v_dual_mov_b32 v3, v11
.LBB12_148:                             ;   in Loop: Header=BB12_137 Depth=2
	v_dual_mov_b32 v0, v26 :: v_dual_mov_b32 v1, v24
	v_dual_mov_b32 v12, v24 :: v_dual_mov_b32 v13, v25
	v_mov_b32_e32 v2, v25
	s_xor_b32 s35, s1, -1
	s_mov_b32 s1, -1
	s_and_b32 vcc_lo, exec_lo, s35
	s_cbranch_vccnz .LBB12_142
.LBB12_149:                             ;   in Loop: Header=BB12_137 Depth=2
                                        ; implicit-def: $vgpr0
                                        ; implicit-def: $vgpr1_vgpr2
	s_and_not1_b32 vcc_lo, exec_lo, s1
	s_cbranch_vccnz .LBB12_151
.LBB12_150:                             ;   in Loop: Header=BB12_137 Depth=2
	v_mov_b32_e32 v1, v12
	v_dual_mov_b32 v7, v6 :: v_dual_mov_b32 v2, v13
	v_mov_b32_e32 v0, v56
	ds_store_2addr_b32 v6, v56, v24 offset0:5 offset1:7
	global_store_b64 v[10:11], v[6:7], off
.LBB12_151:                             ;   in Loop: Header=BB12_137 Depth=2
	v_lshlrev_b64 v[28:29], 3, v[1:2]
	v_add_nc_u32_e32 v1, -1, v24
	s_mov_b32 s1, exec_lo
	s_delay_alu instid0(VALU_DEP_2) | instskip(NEXT) | instid1(VALU_DEP_3)
	v_add_co_u32 v25, vcc_lo, s14, v28
	v_add_co_ci_u32_e32 v26, vcc_lo, s15, v29, vcc_lo
	global_load_b64 v[36:37], v[25:26], off
	s_waitcnt vmcnt(0)
	ds_store_b64 v6, v[36:37]
	v_cmpx_ne_u32_e64 v0, v24
	s_xor_b32 s35, exec_lo, s1
	s_cbranch_execz .LBB12_208
; %bb.152:                              ;   in Loop: Header=BB12_137 Depth=2
	s_mov_b32 s1, exec_lo
	v_cmpx_ne_u32_e64 v0, v1
	s_xor_b32 s56, exec_lo, s1
	s_cbranch_execz .LBB12_180
; %bb.153:                              ;   in Loop: Header=BB12_137 Depth=2
	v_add_co_u32 v2, vcc_lo, s42, v28
	v_add_co_ci_u32_e32 v3, vcc_lo, s43, v29, vcc_lo
	s_mov_b32 s58, exec_lo
	global_load_b64 v[28:29], v[25:26], off offset:-8
	global_load_b64 v[30:31], v[2:3], off
	s_waitcnt vmcnt(1)
	v_add_f64 v[28:29], v[28:29], -v[36:37]
	s_waitcnt vmcnt(0)
	v_add_f64 v[32:33], v[30:31], v[30:31]
	s_delay_alu instid0(VALU_DEP_1) | instskip(SKIP_1) | instid1(VALU_DEP_2)
	v_div_scale_f64 v[34:35], null, v[32:33], v[32:33], v[28:29]
	v_div_scale_f64 v[42:43], vcc_lo, v[28:29], v[32:33], v[28:29]
	v_rcp_f64_e32 v[38:39], v[34:35]
	s_waitcnt_depctr 0xfff
	v_fma_f64 v[40:41], -v[34:35], v[38:39], 1.0
	s_delay_alu instid0(VALU_DEP_1) | instskip(NEXT) | instid1(VALU_DEP_1)
	v_fma_f64 v[38:39], v[38:39], v[40:41], v[38:39]
	v_fma_f64 v[40:41], -v[34:35], v[38:39], 1.0
	s_delay_alu instid0(VALU_DEP_1) | instskip(NEXT) | instid1(VALU_DEP_1)
	v_fma_f64 v[38:39], v[38:39], v[40:41], v[38:39]
	v_mul_f64 v[40:41], v[42:43], v[38:39]
	s_delay_alu instid0(VALU_DEP_1) | instskip(NEXT) | instid1(VALU_DEP_1)
	v_fma_f64 v[34:35], -v[34:35], v[40:41], v[42:43]
	v_div_fmas_f64 v[34:35], v[34:35], v[38:39], v[40:41]
	s_delay_alu instid0(VALU_DEP_1) | instskip(NEXT) | instid1(VALU_DEP_1)
	v_div_fixup_f64 v[28:29], v[34:35], v[32:33], v[28:29]
	v_fma_f64 v[32:33], v[28:29], v[28:29], 1.0
	s_delay_alu instid0(VALU_DEP_1) | instskip(SKIP_1) | instid1(VALU_DEP_1)
	v_cmp_gt_f64_e32 vcc_lo, 0x10000000, v[32:33]
	v_cndmask_b32_e64 v1, 0, 1, vcc_lo
	v_lshlrev_b32_e32 v1, 8, v1
	s_delay_alu instid0(VALU_DEP_1) | instskip(SKIP_1) | instid1(VALU_DEP_2)
	v_ldexp_f64 v[32:33], v[32:33], v1
	v_cndmask_b32_e64 v1, 0, 0xffffff80, vcc_lo
	v_rsq_f64_e32 v[34:35], v[32:33]
	v_cmp_class_f64_e64 vcc_lo, v[32:33], 0x260
	s_waitcnt_depctr 0xfff
	v_mul_f64 v[38:39], v[32:33], v[34:35]
	v_mul_f64 v[34:35], v[34:35], 0.5
	s_delay_alu instid0(VALU_DEP_1) | instskip(NEXT) | instid1(VALU_DEP_1)
	v_fma_f64 v[40:41], -v[34:35], v[38:39], 0.5
	v_fma_f64 v[38:39], v[38:39], v[40:41], v[38:39]
	v_fma_f64 v[34:35], v[34:35], v[40:41], v[34:35]
	s_delay_alu instid0(VALU_DEP_2) | instskip(NEXT) | instid1(VALU_DEP_1)
	v_fma_f64 v[40:41], -v[38:39], v[38:39], v[32:33]
	v_fma_f64 v[38:39], v[40:41], v[34:35], v[38:39]
	s_delay_alu instid0(VALU_DEP_1) | instskip(NEXT) | instid1(VALU_DEP_1)
	v_fma_f64 v[40:41], -v[38:39], v[38:39], v[32:33]
	v_fma_f64 v[34:35], v[40:41], v[34:35], v[38:39]
	s_delay_alu instid0(VALU_DEP_1) | instskip(NEXT) | instid1(VALU_DEP_1)
	v_ldexp_f64 v[34:35], v[34:35], v1
	v_dual_cndmask_b32 v32, v34, v32 :: v_dual_cndmask_b32 v1, v35, v33
	v_cmp_nle_f64_e32 vcc_lo, 0, v[28:29]
	s_delay_alu instid0(VALU_DEP_2) | instskip(SKIP_1) | instid1(VALU_DEP_1)
	v_and_b32_e32 v7, 0x7fffffff, v1
	v_or_b32_e32 v1, 0x80000000, v1
	v_cndmask_b32_e32 v33, v7, v1, vcc_lo
	v_ashrrev_i32_e32 v1, 31, v0
	v_mov_b32_e32 v7, v6
	s_delay_alu instid0(VALU_DEP_3) | instskip(NEXT) | instid1(VALU_DEP_3)
	v_add_f64 v[28:29], v[28:29], v[32:33]
	v_lshlrev_b64 v[38:39], 3, v[0:1]
	v_add_nc_u32_e32 v1, 1, v27
	s_delay_alu instid0(VALU_DEP_2) | instskip(NEXT) | instid1(VALU_DEP_3)
	v_add_co_u32 v34, vcc_lo, s14, v38
	v_add_co_ci_u32_e32 v35, vcc_lo, s15, v39, vcc_lo
	global_load_b64 v[40:41], v[34:35], off
	ds_store_b32 v6, v1 offset:36
	ds_store_b64 v6, v[6:7]
	v_div_scale_f64 v[32:33], null, v[28:29], v[28:29], v[30:31]
	s_delay_alu instid0(VALU_DEP_1) | instskip(SKIP_2) | instid1(VALU_DEP_1)
	v_rcp_f64_e32 v[42:43], v[32:33]
	s_waitcnt_depctr 0xfff
	v_fma_f64 v[44:45], -v[32:33], v[42:43], 1.0
	v_fma_f64 v[42:43], v[42:43], v[44:45], v[42:43]
	s_delay_alu instid0(VALU_DEP_1) | instskip(NEXT) | instid1(VALU_DEP_1)
	v_fma_f64 v[44:45], -v[32:33], v[42:43], 1.0
	v_fma_f64 v[42:43], v[42:43], v[44:45], v[42:43]
	v_div_scale_f64 v[44:45], vcc_lo, v[30:31], v[28:29], v[30:31]
	s_delay_alu instid0(VALU_DEP_1) | instskip(NEXT) | instid1(VALU_DEP_1)
	v_mul_f64 v[46:47], v[44:45], v[42:43]
	v_fma_f64 v[32:33], -v[32:33], v[46:47], v[44:45]
	s_delay_alu instid0(VALU_DEP_1) | instskip(SKIP_2) | instid1(VALU_DEP_2)
	v_div_fmas_f64 v[32:33], v[32:33], v[42:43], v[46:47]
	s_waitcnt vmcnt(0)
	v_add_f64 v[42:43], v[40:41], -v[36:37]
	v_div_fixup_f64 v[28:29], v[32:33], v[28:29], v[30:31]
	v_mov_b32_e32 v32, 0
	v_mov_b32_e32 v33, 0
	s_delay_alu instid0(VALU_DEP_3)
	v_add_f64 v[28:29], v[42:43], v[28:29]
	v_cmpx_lt_i32_e64 v0, v24
	s_cbranch_execz .LBB12_179
; %bb.154:                              ;   in Loop: Header=BB12_137 Depth=2
	v_add_co_u32 v30, vcc_lo, s6, v38
	v_add_co_ci_u32_e32 v31, vcc_lo, s70, v39, vcc_lo
	s_mov_b32 s1, exec_lo
	v_mov_b32_e32 v46, 0
	v_mov_b32_e32 v47, 0
	global_load_b64 v[36:37], v[30:31], off
	v_mov_b32_e32 v30, 0
	v_mov_b32_e32 v31, 0x3ff00000
	s_waitcnt vmcnt(0)
	v_cmpx_neq_f64_e32 0, v[36:37]
	s_cbranch_execz .LBB12_162
; %bb.155:                              ;   in Loop: Header=BB12_137 Depth=2
	v_mov_b32_e32 v46, 0
	v_dual_mov_b32 v47, 0x3ff00000 :: v_dual_mov_b32 v30, 0
	v_mov_b32_e32 v31, 0
	s_mov_b32 s59, exec_lo
	v_cmpx_neq_f64_e32 0, v[28:29]
	s_cbranch_execz .LBB12_161
; %bb.156:                              ;   in Loop: Header=BB12_137 Depth=2
	v_cmp_ngt_f64_e64 s60, |v[36:37]|, |v[28:29]|
                                        ; implicit-def: $vgpr46_vgpr47
                                        ; implicit-def: $vgpr30_vgpr31
	s_delay_alu instid0(VALU_DEP_1) | instskip(NEXT) | instid1(SALU_CYCLE_1)
	s_and_saveexec_b32 s61, s60
	s_xor_b32 s60, exec_lo, s61
	s_cbranch_execz .LBB12_158
; %bb.157:                              ;   in Loop: Header=BB12_137 Depth=2
	v_div_scale_f64 v[30:31], null, v[28:29], v[28:29], -v[36:37]
	v_div_scale_f64 v[44:45], vcc_lo, -v[36:37], v[28:29], -v[36:37]
	s_delay_alu instid0(VALU_DEP_2) | instskip(SKIP_2) | instid1(VALU_DEP_1)
	v_rcp_f64_e32 v[32:33], v[30:31]
	s_waitcnt_depctr 0xfff
	v_fma_f64 v[42:43], -v[30:31], v[32:33], 1.0
	v_fma_f64 v[32:33], v[32:33], v[42:43], v[32:33]
	s_delay_alu instid0(VALU_DEP_1) | instskip(NEXT) | instid1(VALU_DEP_1)
	v_fma_f64 v[42:43], -v[30:31], v[32:33], 1.0
	v_fma_f64 v[32:33], v[32:33], v[42:43], v[32:33]
	s_delay_alu instid0(VALU_DEP_1) | instskip(NEXT) | instid1(VALU_DEP_1)
	v_mul_f64 v[42:43], v[44:45], v[32:33]
	v_fma_f64 v[30:31], -v[30:31], v[42:43], v[44:45]
	s_delay_alu instid0(VALU_DEP_1) | instskip(NEXT) | instid1(VALU_DEP_1)
	v_div_fmas_f64 v[30:31], v[30:31], v[32:33], v[42:43]
	v_div_fixup_f64 v[27:28], v[30:31], v[28:29], -v[36:37]
	s_delay_alu instid0(VALU_DEP_1) | instskip(NEXT) | instid1(VALU_DEP_1)
	v_fma_f64 v[29:30], v[27:28], v[27:28], 1.0
	v_cmp_gt_f64_e32 vcc_lo, 0x10000000, v[29:30]
	v_cndmask_b32_e64 v1, 0, 1, vcc_lo
	s_delay_alu instid0(VALU_DEP_1) | instskip(NEXT) | instid1(VALU_DEP_1)
	v_lshlrev_b32_e32 v1, 8, v1
	v_ldexp_f64 v[29:30], v[29:30], v1
	v_cndmask_b32_e64 v1, 0, 0xffffff80, vcc_lo
	s_delay_alu instid0(VALU_DEP_2) | instskip(SKIP_4) | instid1(VALU_DEP_1)
	v_rsq_f64_e32 v[31:32], v[29:30]
	v_cmp_class_f64_e64 vcc_lo, v[29:30], 0x260
	s_waitcnt_depctr 0xfff
	v_mul_f64 v[42:43], v[29:30], v[31:32]
	v_mul_f64 v[31:32], v[31:32], 0.5
	v_fma_f64 v[44:45], -v[31:32], v[42:43], 0.5
	s_delay_alu instid0(VALU_DEP_1) | instskip(SKIP_1) | instid1(VALU_DEP_2)
	v_fma_f64 v[42:43], v[42:43], v[44:45], v[42:43]
	v_fma_f64 v[31:32], v[31:32], v[44:45], v[31:32]
	v_fma_f64 v[44:45], -v[42:43], v[42:43], v[29:30]
	s_delay_alu instid0(VALU_DEP_1) | instskip(NEXT) | instid1(VALU_DEP_1)
	v_fma_f64 v[42:43], v[44:45], v[31:32], v[42:43]
	v_fma_f64 v[44:45], -v[42:43], v[42:43], v[29:30]
	s_delay_alu instid0(VALU_DEP_1) | instskip(NEXT) | instid1(VALU_DEP_1)
	v_fma_f64 v[31:32], v[44:45], v[31:32], v[42:43]
	v_ldexp_f64 v[31:32], v[31:32], v1
	s_delay_alu instid0(VALU_DEP_1) | instskip(NEXT) | instid1(VALU_DEP_1)
	v_dual_cndmask_b32 v30, v32, v30 :: v_dual_cndmask_b32 v29, v31, v29
	v_div_scale_f64 v[31:32], null, v[29:30], v[29:30], 1.0
	s_delay_alu instid0(VALU_DEP_1) | instskip(SKIP_2) | instid1(VALU_DEP_1)
	v_rcp_f64_e32 v[42:43], v[31:32]
	s_waitcnt_depctr 0xfff
	v_fma_f64 v[44:45], -v[31:32], v[42:43], 1.0
	v_fma_f64 v[42:43], v[42:43], v[44:45], v[42:43]
	s_delay_alu instid0(VALU_DEP_1) | instskip(NEXT) | instid1(VALU_DEP_1)
	v_fma_f64 v[44:45], -v[31:32], v[42:43], 1.0
	v_fma_f64 v[42:43], v[42:43], v[44:45], v[42:43]
	v_div_scale_f64 v[44:45], vcc_lo, 1.0, v[29:30], 1.0
	s_delay_alu instid0(VALU_DEP_1) | instskip(NEXT) | instid1(VALU_DEP_1)
	v_mul_f64 v[46:47], v[44:45], v[42:43]
	v_fma_f64 v[31:32], -v[31:32], v[46:47], v[44:45]
	s_delay_alu instid0(VALU_DEP_1) | instskip(NEXT) | instid1(VALU_DEP_1)
	v_div_fmas_f64 v[31:32], v[31:32], v[42:43], v[46:47]
	v_div_fixup_f64 v[30:31], v[31:32], v[29:30], 1.0
	s_delay_alu instid0(VALU_DEP_1)
	v_mul_f64 v[46:47], v[27:28], v[30:31]
                                        ; implicit-def: $vgpr28_vgpr29
.LBB12_158:                             ;   in Loop: Header=BB12_137 Depth=2
	s_and_not1_saveexec_b32 s60, s60
	s_cbranch_execz .LBB12_160
; %bb.159:                              ;   in Loop: Header=BB12_137 Depth=2
	v_div_scale_f64 v[30:31], null, v[36:37], v[36:37], -v[28:29]
	v_div_scale_f64 v[44:45], vcc_lo, -v[28:29], v[36:37], -v[28:29]
	s_delay_alu instid0(VALU_DEP_2) | instskip(SKIP_2) | instid1(VALU_DEP_1)
	v_rcp_f64_e32 v[32:33], v[30:31]
	s_waitcnt_depctr 0xfff
	v_fma_f64 v[42:43], -v[30:31], v[32:33], 1.0
	v_fma_f64 v[32:33], v[32:33], v[42:43], v[32:33]
	s_delay_alu instid0(VALU_DEP_1) | instskip(NEXT) | instid1(VALU_DEP_1)
	v_fma_f64 v[42:43], -v[30:31], v[32:33], 1.0
	v_fma_f64 v[32:33], v[32:33], v[42:43], v[32:33]
	s_delay_alu instid0(VALU_DEP_1) | instskip(NEXT) | instid1(VALU_DEP_1)
	v_mul_f64 v[42:43], v[44:45], v[32:33]
	v_fma_f64 v[30:31], -v[30:31], v[42:43], v[44:45]
	s_delay_alu instid0(VALU_DEP_1) | instskip(NEXT) | instid1(VALU_DEP_1)
	v_div_fmas_f64 v[30:31], v[30:31], v[32:33], v[42:43]
	v_div_fixup_f64 v[27:28], v[30:31], v[36:37], -v[28:29]
	s_delay_alu instid0(VALU_DEP_1) | instskip(NEXT) | instid1(VALU_DEP_1)
	v_fma_f64 v[29:30], v[27:28], v[27:28], 1.0
	v_cmp_gt_f64_e32 vcc_lo, 0x10000000, v[29:30]
	v_cndmask_b32_e64 v1, 0, 1, vcc_lo
	s_delay_alu instid0(VALU_DEP_1) | instskip(NEXT) | instid1(VALU_DEP_1)
	v_lshlrev_b32_e32 v1, 8, v1
	v_ldexp_f64 v[29:30], v[29:30], v1
	v_cndmask_b32_e64 v1, 0, 0xffffff80, vcc_lo
	s_delay_alu instid0(VALU_DEP_2) | instskip(SKIP_4) | instid1(VALU_DEP_1)
	v_rsq_f64_e32 v[31:32], v[29:30]
	v_cmp_class_f64_e64 vcc_lo, v[29:30], 0x260
	s_waitcnt_depctr 0xfff
	v_mul_f64 v[42:43], v[29:30], v[31:32]
	v_mul_f64 v[31:32], v[31:32], 0.5
	v_fma_f64 v[44:45], -v[31:32], v[42:43], 0.5
	s_delay_alu instid0(VALU_DEP_1) | instskip(SKIP_1) | instid1(VALU_DEP_2)
	v_fma_f64 v[42:43], v[42:43], v[44:45], v[42:43]
	v_fma_f64 v[31:32], v[31:32], v[44:45], v[31:32]
	v_fma_f64 v[44:45], -v[42:43], v[42:43], v[29:30]
	s_delay_alu instid0(VALU_DEP_1) | instskip(NEXT) | instid1(VALU_DEP_1)
	v_fma_f64 v[42:43], v[44:45], v[31:32], v[42:43]
	v_fma_f64 v[44:45], -v[42:43], v[42:43], v[29:30]
	s_delay_alu instid0(VALU_DEP_1) | instskip(NEXT) | instid1(VALU_DEP_1)
	v_fma_f64 v[31:32], v[44:45], v[31:32], v[42:43]
	v_ldexp_f64 v[31:32], v[31:32], v1
	s_delay_alu instid0(VALU_DEP_1) | instskip(NEXT) | instid1(VALU_DEP_1)
	v_dual_cndmask_b32 v30, v32, v30 :: v_dual_cndmask_b32 v29, v31, v29
	v_div_scale_f64 v[31:32], null, v[29:30], v[29:30], 1.0
	s_delay_alu instid0(VALU_DEP_1) | instskip(SKIP_2) | instid1(VALU_DEP_1)
	v_rcp_f64_e32 v[42:43], v[31:32]
	s_waitcnt_depctr 0xfff
	v_fma_f64 v[44:45], -v[31:32], v[42:43], 1.0
	v_fma_f64 v[42:43], v[42:43], v[44:45], v[42:43]
	s_delay_alu instid0(VALU_DEP_1) | instskip(NEXT) | instid1(VALU_DEP_1)
	v_fma_f64 v[44:45], -v[31:32], v[42:43], 1.0
	v_fma_f64 v[42:43], v[42:43], v[44:45], v[42:43]
	v_div_scale_f64 v[44:45], vcc_lo, 1.0, v[29:30], 1.0
	s_delay_alu instid0(VALU_DEP_1) | instskip(NEXT) | instid1(VALU_DEP_1)
	v_mul_f64 v[46:47], v[44:45], v[42:43]
	v_fma_f64 v[31:32], -v[31:32], v[46:47], v[44:45]
	s_delay_alu instid0(VALU_DEP_1) | instskip(NEXT) | instid1(VALU_DEP_1)
	v_div_fmas_f64 v[31:32], v[31:32], v[42:43], v[46:47]
	v_div_fixup_f64 v[46:47], v[31:32], v[29:30], 1.0
	s_delay_alu instid0(VALU_DEP_1)
	v_mul_f64 v[30:31], v[27:28], v[46:47]
.LBB12_160:                             ;   in Loop: Header=BB12_137 Depth=2
	s_or_b32 exec_lo, exec_lo, s60
.LBB12_161:                             ;   in Loop: Header=BB12_137 Depth=2
	s_delay_alu instid0(SALU_CYCLE_1)
	s_or_b32 exec_lo, exec_lo, s59
.LBB12_162:                             ;   in Loop: Header=BB12_137 Depth=2
	s_delay_alu instid0(SALU_CYCLE_1)
	s_or_b32 exec_lo, exec_lo, s1
	global_load_b64 v[27:28], v[34:35], off offset:8
	v_add_f64 v[32:33], v[30:31], v[30:31]
	s_mov_b32 s59, exec_lo
	s_waitcnt vmcnt(0)
	v_add_f64 v[27:28], v[27:28], -v[40:41]
	s_delay_alu instid0(VALU_DEP_1) | instskip(NEXT) | instid1(VALU_DEP_1)
	v_mul_f64 v[27:28], v[46:47], v[27:28]
	v_fma_f64 v[27:28], v[36:37], v[32:33], -v[27:28]
	s_delay_alu instid0(VALU_DEP_1)
	v_mul_f64 v[32:33], v[27:28], -v[46:47]
	v_fma_f64 v[40:41], v[27:28], -v[46:47], v[40:41]
	v_fma_f64 v[28:29], v[30:31], v[27:28], -v[36:37]
	v_add_co_u32 v37, vcc_lo, s73, v38
	v_add_co_ci_u32_e32 v38, vcc_lo, s74, v39, vcc_lo
	v_xor_b32_e32 v47, 0x80000000, v47
	v_add_nc_u32_e32 v36, 1, v0
	s_delay_alu instid0(VALU_DEP_4) | instskip(NEXT) | instid1(VALU_DEP_4)
	v_add_co_u32 v42, vcc_lo, v37, s46
	v_add_co_ci_u32_e32 v43, vcc_lo, s47, v38, vcc_lo
	ds_store_b64 v6, v[32:33]
	global_store_b64 v[34:35], v[40:41], off
	s_clause 0x1
	global_store_b64 v[37:38], v[30:31], off
	global_store_b64 v[42:43], v[46:47], off offset:-8
	v_cmpx_lt_i32_e64 v36, v24
	s_cbranch_execz .LBB12_178
; %bb.163:                              ;   in Loop: Header=BB12_137 Depth=2
	v_ashrrev_i32_e32 v37, 31, v36
	s_mov_b32 s61, 1
	s_mov_b32 s60, 0
	s_delay_alu instid0(VALU_DEP_1) | instskip(NEXT) | instid1(VALU_DEP_1)
	v_lshlrev_b64 v[38:39], 3, v[36:37]
	v_add_co_u32 v34, vcc_lo, s73, v38
	s_delay_alu instid0(VALU_DEP_2)
	v_add_co_ci_u32_e32 v35, vcc_lo, s74, v39, vcc_lo
	v_add_co_u32 v36, vcc_lo, s42, v38
	v_add_co_ci_u32_e32 v37, vcc_lo, s43, v39, vcc_lo
	v_add_co_u32 v38, vcc_lo, s75, v38
	v_add_co_ci_u32_e32 v39, vcc_lo, s76, v39, vcc_lo
	s_branch .LBB12_165
.LBB12_164:                             ;   in Loop: Header=BB12_165 Depth=3
	global_load_b128 v[48:51], v[38:39], off
	v_mul_f64 v[29:30], v[30:31], v[40:41]
	v_add_f64 v[40:41], v[44:45], v[44:45]
	v_add_co_u32 v36, vcc_lo, v36, 8
	v_add_co_ci_u32_e32 v37, vcc_lo, 0, v37, vcc_lo
	s_add_i32 s61, s61, 1
	s_waitcnt vmcnt(0)
	v_add_f64 v[27:28], v[48:49], -v[32:33]
	s_delay_alu instid0(VALU_DEP_1) | instskip(NEXT) | instid1(VALU_DEP_1)
	v_add_f64 v[32:33], v[50:51], -v[27:28]
	v_mul_f64 v[31:32], v[46:47], v[32:33]
	s_delay_alu instid0(VALU_DEP_1) | instskip(NEXT) | instid1(VALU_DEP_1)
	v_fma_f64 v[40:41], v[29:30], v[40:41], -v[31:32]
	v_fma_f64 v[42:43], v[40:41], -v[46:47], v[27:28]
	v_mul_f64 v[32:33], v[40:41], -v[46:47]
	v_fma_f64 v[28:29], v[44:45], v[40:41], -v[29:30]
	v_add_co_u32 v30, vcc_lo, v38, 8
	v_add_co_ci_u32_e32 v31, vcc_lo, 0, v39, vcc_lo
	v_add_nc_u32_e32 v1, s61, v0
	v_add_co_u32 v40, vcc_lo, v34, s25
	v_add_co_ci_u32_e32 v41, vcc_lo, s29, v35, vcc_lo
	v_xor_b32_e32 v47, 0x80000000, v47
	global_store_b64 v[38:39], v[42:43], off
	global_store_b64 v[34:35], v[44:45], off
	v_mov_b32_e32 v39, v31
	v_add_co_u32 v34, s1, v34, 8
	v_mov_b32_e32 v38, v30
	v_mov_b32_e32 v30, v44
	v_cmp_ge_i32_e32 vcc_lo, v1, v24
	v_add_co_ci_u32_e64 v35, s1, 0, v35, s1
	v_mov_b32_e32 v31, v45
	global_store_b64 v[40:41], v[46:47], off
	s_or_b32 s60, vcc_lo, s60
	s_delay_alu instid0(SALU_CYCLE_1)
	s_and_not1_b32 exec_lo, exec_lo, s60
	s_cbranch_execz .LBB12_177
.LBB12_165:                             ;   Parent Loop BB12_7 Depth=1
                                        ;     Parent Loop BB12_137 Depth=2
                                        ; =>    This Inner Loop Header: Depth=3
	global_load_b64 v[40:41], v[36:37], off offset:8
	v_mov_b32_e32 v44, 0
	v_mov_b32_e32 v45, 0x3ff00000
	s_mov_b32 s1, exec_lo
	s_waitcnt vmcnt(0)
	v_mul_f64 v[42:43], v[46:47], v[40:41]
	v_mov_b32_e32 v46, 0
	v_mov_b32_e32 v47, 0
	s_delay_alu instid0(VALU_DEP_3)
	v_cmpx_neq_f64_e32 0, v[42:43]
	s_cbranch_execz .LBB12_175
; %bb.166:                              ;   in Loop: Header=BB12_165 Depth=3
	s_mov_b32 s62, exec_lo
                                        ; implicit-def: $vgpr46_vgpr47
                                        ; implicit-def: $vgpr44_vgpr45
	v_cmpx_neq_f64_e32 0, v[28:29]
	s_xor_b32 s62, exec_lo, s62
	s_cbranch_execz .LBB12_172
; %bb.167:                              ;   in Loop: Header=BB12_165 Depth=3
	v_cmp_ngt_f64_e64 s63, |v[42:43]|, |v[28:29]|
                                        ; implicit-def: $vgpr46_vgpr47
                                        ; implicit-def: $vgpr44_vgpr45
	s_delay_alu instid0(VALU_DEP_1) | instskip(NEXT) | instid1(SALU_CYCLE_1)
	s_and_saveexec_b32 s64, s63
	s_xor_b32 s63, exec_lo, s64
	s_cbranch_execz .LBB12_169
; %bb.168:                              ;   in Loop: Header=BB12_165 Depth=3
	v_div_scale_f64 v[44:45], null, v[28:29], v[28:29], -v[42:43]
	v_div_scale_f64 v[50:51], vcc_lo, -v[42:43], v[28:29], -v[42:43]
	s_delay_alu instid0(VALU_DEP_2) | instskip(SKIP_2) | instid1(VALU_DEP_1)
	v_rcp_f64_e32 v[46:47], v[44:45]
	s_waitcnt_depctr 0xfff
	v_fma_f64 v[48:49], -v[44:45], v[46:47], 1.0
	v_fma_f64 v[46:47], v[46:47], v[48:49], v[46:47]
	s_delay_alu instid0(VALU_DEP_1) | instskip(NEXT) | instid1(VALU_DEP_1)
	v_fma_f64 v[48:49], -v[44:45], v[46:47], 1.0
	v_fma_f64 v[46:47], v[46:47], v[48:49], v[46:47]
	s_delay_alu instid0(VALU_DEP_1) | instskip(NEXT) | instid1(VALU_DEP_1)
	v_mul_f64 v[48:49], v[50:51], v[46:47]
	v_fma_f64 v[44:45], -v[44:45], v[48:49], v[50:51]
	s_delay_alu instid0(VALU_DEP_1) | instskip(NEXT) | instid1(VALU_DEP_1)
	v_div_fmas_f64 v[44:45], v[44:45], v[46:47], v[48:49]
	v_div_fixup_f64 v[46:47], v[44:45], v[28:29], -v[42:43]
	s_delay_alu instid0(VALU_DEP_1) | instskip(NEXT) | instid1(VALU_DEP_1)
	v_fma_f64 v[44:45], v[46:47], v[46:47], 1.0
	v_cmp_gt_f64_e32 vcc_lo, 0x10000000, v[44:45]
	v_cndmask_b32_e64 v1, 0, 1, vcc_lo
	s_delay_alu instid0(VALU_DEP_1) | instskip(NEXT) | instid1(VALU_DEP_1)
	v_lshlrev_b32_e32 v1, 8, v1
	v_ldexp_f64 v[44:45], v[44:45], v1
	v_cndmask_b32_e64 v1, 0, 0xffffff80, vcc_lo
	s_delay_alu instid0(VALU_DEP_2) | instskip(SKIP_4) | instid1(VALU_DEP_1)
	v_rsq_f64_e32 v[48:49], v[44:45]
	v_cmp_class_f64_e64 vcc_lo, v[44:45], 0x260
	s_waitcnt_depctr 0xfff
	v_mul_f64 v[50:51], v[44:45], v[48:49]
	v_mul_f64 v[48:49], v[48:49], 0.5
	v_fma_f64 v[52:53], -v[48:49], v[50:51], 0.5
	s_delay_alu instid0(VALU_DEP_1) | instskip(SKIP_1) | instid1(VALU_DEP_2)
	v_fma_f64 v[50:51], v[50:51], v[52:53], v[50:51]
	v_fma_f64 v[48:49], v[48:49], v[52:53], v[48:49]
	v_fma_f64 v[52:53], -v[50:51], v[50:51], v[44:45]
	s_delay_alu instid0(VALU_DEP_1) | instskip(NEXT) | instid1(VALU_DEP_1)
	v_fma_f64 v[50:51], v[52:53], v[48:49], v[50:51]
	v_fma_f64 v[52:53], -v[50:51], v[50:51], v[44:45]
	s_delay_alu instid0(VALU_DEP_1) | instskip(NEXT) | instid1(VALU_DEP_1)
	v_fma_f64 v[48:49], v[52:53], v[48:49], v[50:51]
	v_ldexp_f64 v[48:49], v[48:49], v1
	s_delay_alu instid0(VALU_DEP_1) | instskip(NEXT) | instid1(VALU_DEP_1)
	v_dual_cndmask_b32 v44, v48, v44 :: v_dual_cndmask_b32 v45, v49, v45
	v_div_scale_f64 v[48:49], null, v[44:45], v[44:45], 1.0
	s_delay_alu instid0(VALU_DEP_1) | instskip(SKIP_2) | instid1(VALU_DEP_1)
	v_rcp_f64_e32 v[50:51], v[48:49]
	s_waitcnt_depctr 0xfff
	v_fma_f64 v[52:53], -v[48:49], v[50:51], 1.0
	v_fma_f64 v[50:51], v[50:51], v[52:53], v[50:51]
	s_delay_alu instid0(VALU_DEP_1) | instskip(NEXT) | instid1(VALU_DEP_1)
	v_fma_f64 v[52:53], -v[48:49], v[50:51], 1.0
	v_fma_f64 v[50:51], v[50:51], v[52:53], v[50:51]
	v_div_scale_f64 v[52:53], vcc_lo, 1.0, v[44:45], 1.0
	s_delay_alu instid0(VALU_DEP_1) | instskip(NEXT) | instid1(VALU_DEP_1)
	v_mul_f64 v[58:59], v[52:53], v[50:51]
	v_fma_f64 v[48:49], -v[48:49], v[58:59], v[52:53]
	s_delay_alu instid0(VALU_DEP_1) | instskip(NEXT) | instid1(VALU_DEP_1)
	v_div_fmas_f64 v[48:49], v[48:49], v[50:51], v[58:59]
	v_div_fixup_f64 v[44:45], v[48:49], v[44:45], 1.0
	s_delay_alu instid0(VALU_DEP_1)
	v_mul_f64 v[46:47], v[46:47], v[44:45]
.LBB12_169:                             ;   in Loop: Header=BB12_165 Depth=3
	s_and_not1_saveexec_b32 s63, s63
	s_cbranch_execz .LBB12_171
; %bb.170:                              ;   in Loop: Header=BB12_165 Depth=3
	v_div_scale_f64 v[44:45], null, v[42:43], v[42:43], -v[28:29]
	v_div_scale_f64 v[50:51], vcc_lo, -v[28:29], v[42:43], -v[28:29]
	s_delay_alu instid0(VALU_DEP_2) | instskip(SKIP_2) | instid1(VALU_DEP_1)
	v_rcp_f64_e32 v[46:47], v[44:45]
	s_waitcnt_depctr 0xfff
	v_fma_f64 v[48:49], -v[44:45], v[46:47], 1.0
	v_fma_f64 v[46:47], v[46:47], v[48:49], v[46:47]
	s_delay_alu instid0(VALU_DEP_1) | instskip(NEXT) | instid1(VALU_DEP_1)
	v_fma_f64 v[48:49], -v[44:45], v[46:47], 1.0
	v_fma_f64 v[46:47], v[46:47], v[48:49], v[46:47]
	s_delay_alu instid0(VALU_DEP_1) | instskip(NEXT) | instid1(VALU_DEP_1)
	v_mul_f64 v[48:49], v[50:51], v[46:47]
	v_fma_f64 v[44:45], -v[44:45], v[48:49], v[50:51]
	s_delay_alu instid0(VALU_DEP_1) | instskip(NEXT) | instid1(VALU_DEP_1)
	v_div_fmas_f64 v[44:45], v[44:45], v[46:47], v[48:49]
	v_div_fixup_f64 v[44:45], v[44:45], v[42:43], -v[28:29]
	s_delay_alu instid0(VALU_DEP_1) | instskip(NEXT) | instid1(VALU_DEP_1)
	v_fma_f64 v[46:47], v[44:45], v[44:45], 1.0
	v_cmp_gt_f64_e32 vcc_lo, 0x10000000, v[46:47]
	v_cndmask_b32_e64 v1, 0, 1, vcc_lo
	s_delay_alu instid0(VALU_DEP_1) | instskip(NEXT) | instid1(VALU_DEP_1)
	v_lshlrev_b32_e32 v1, 8, v1
	v_ldexp_f64 v[46:47], v[46:47], v1
	v_cndmask_b32_e64 v1, 0, 0xffffff80, vcc_lo
	s_delay_alu instid0(VALU_DEP_2) | instskip(SKIP_4) | instid1(VALU_DEP_1)
	v_rsq_f64_e32 v[48:49], v[46:47]
	v_cmp_class_f64_e64 vcc_lo, v[46:47], 0x260
	s_waitcnt_depctr 0xfff
	v_mul_f64 v[50:51], v[46:47], v[48:49]
	v_mul_f64 v[48:49], v[48:49], 0.5
	v_fma_f64 v[52:53], -v[48:49], v[50:51], 0.5
	s_delay_alu instid0(VALU_DEP_1) | instskip(SKIP_1) | instid1(VALU_DEP_2)
	v_fma_f64 v[50:51], v[50:51], v[52:53], v[50:51]
	v_fma_f64 v[48:49], v[48:49], v[52:53], v[48:49]
	v_fma_f64 v[52:53], -v[50:51], v[50:51], v[46:47]
	s_delay_alu instid0(VALU_DEP_1) | instskip(NEXT) | instid1(VALU_DEP_1)
	v_fma_f64 v[50:51], v[52:53], v[48:49], v[50:51]
	v_fma_f64 v[52:53], -v[50:51], v[50:51], v[46:47]
	s_delay_alu instid0(VALU_DEP_1) | instskip(NEXT) | instid1(VALU_DEP_1)
	v_fma_f64 v[48:49], v[52:53], v[48:49], v[50:51]
	v_ldexp_f64 v[48:49], v[48:49], v1
	s_delay_alu instid0(VALU_DEP_1) | instskip(NEXT) | instid1(VALU_DEP_1)
	v_dual_cndmask_b32 v46, v48, v46 :: v_dual_cndmask_b32 v47, v49, v47
	v_div_scale_f64 v[48:49], null, v[46:47], v[46:47], 1.0
	s_delay_alu instid0(VALU_DEP_1) | instskip(SKIP_2) | instid1(VALU_DEP_1)
	v_rcp_f64_e32 v[50:51], v[48:49]
	s_waitcnt_depctr 0xfff
	v_fma_f64 v[52:53], -v[48:49], v[50:51], 1.0
	v_fma_f64 v[50:51], v[50:51], v[52:53], v[50:51]
	s_delay_alu instid0(VALU_DEP_1) | instskip(NEXT) | instid1(VALU_DEP_1)
	v_fma_f64 v[52:53], -v[48:49], v[50:51], 1.0
	v_fma_f64 v[50:51], v[50:51], v[52:53], v[50:51]
	v_div_scale_f64 v[52:53], vcc_lo, 1.0, v[46:47], 1.0
	s_delay_alu instid0(VALU_DEP_1) | instskip(NEXT) | instid1(VALU_DEP_1)
	v_mul_f64 v[58:59], v[52:53], v[50:51]
	v_fma_f64 v[48:49], -v[48:49], v[58:59], v[52:53]
	s_delay_alu instid0(VALU_DEP_1) | instskip(NEXT) | instid1(VALU_DEP_1)
	v_div_fmas_f64 v[48:49], v[48:49], v[50:51], v[58:59]
	v_div_fixup_f64 v[46:47], v[48:49], v[46:47], 1.0
	s_delay_alu instid0(VALU_DEP_1)
	v_mul_f64 v[44:45], v[44:45], v[46:47]
.LBB12_171:                             ;   in Loop: Header=BB12_165 Depth=3
	s_or_b32 exec_lo, exec_lo, s63
	s_delay_alu instid0(VALU_DEP_1) | instskip(NEXT) | instid1(VALU_DEP_1)
	v_mul_f64 v[42:43], v[42:43], v[46:47]
	v_fma_f64 v[28:29], v[28:29], v[44:45], -v[42:43]
                                        ; implicit-def: $vgpr42_vgpr43
.LBB12_172:                             ;   in Loop: Header=BB12_165 Depth=3
	s_and_not1_saveexec_b32 s62, s62
; %bb.173:                              ;   in Loop: Header=BB12_165 Depth=3
	v_xor_b32_e32 v43, 0x80000000, v43
	v_mov_b32_e32 v46, 0
	v_dual_mov_b32 v47, 0x3ff00000 :: v_dual_mov_b32 v44, 0
	v_dual_mov_b32 v45, 0 :: v_dual_mov_b32 v28, v42
	s_delay_alu instid0(VALU_DEP_4)
	v_mov_b32_e32 v29, v43
; %bb.174:                              ;   in Loop: Header=BB12_165 Depth=3
	s_or_b32 exec_lo, exec_lo, s62
.LBB12_175:                             ;   in Loop: Header=BB12_165 Depth=3
	s_delay_alu instid0(SALU_CYCLE_1)
	s_or_b32 exec_lo, exec_lo, s1
	s_cmp_eq_u32 s61, 0
	s_cbranch_scc1 .LBB12_164
; %bb.176:                              ;   in Loop: Header=BB12_165 Depth=3
	global_store_b64 v[36:37], v[28:29], off
	s_branch .LBB12_164
.LBB12_177:                             ;   in Loop: Header=BB12_137 Depth=2
	s_or_b32 exec_lo, exec_lo, s60
	ds_store_b64 v6, v[32:33]
.LBB12_178:                             ;   in Loop: Header=BB12_137 Depth=2
	s_or_b32 exec_lo, exec_lo, s59
	global_load_b64 v[36:37], v[25:26], off
.LBB12_179:                             ;   in Loop: Header=BB12_137 Depth=2
	s_or_b32 exec_lo, exec_lo, s58
	s_waitcnt vmcnt(0)
	v_add_f64 v[0:1], v[36:37], -v[32:33]
                                        ; implicit-def: $vgpr24
                                        ; implicit-def: $vgpr36_vgpr37
	global_store_b64 v[25:26], v[0:1], off
	global_store_b64 v[2:3], v[28:29], off
                                        ; implicit-def: $vgpr25_vgpr26
                                        ; implicit-def: $vgpr28_vgpr29
                                        ; implicit-def: $vgpr0
.LBB12_180:                             ;   in Loop: Header=BB12_137 Depth=2
	s_and_not1_saveexec_b32 s56, s56
	s_cbranch_execz .LBB12_217
; %bb.181:                              ;   in Loop: Header=BB12_137 Depth=2
	v_ashrrev_i32_e32 v1, 31, v0
                                        ; implicit-def: $vgpr40_vgpr41
	s_delay_alu instid0(VALU_DEP_1) | instskip(NEXT) | instid1(VALU_DEP_1)
	v_lshlrev_b64 v[30:31], 3, v[0:1]
	v_add_co_u32 v0, vcc_lo, s14, v30
	s_delay_alu instid0(VALU_DEP_2)
	v_add_co_ci_u32_e32 v1, vcc_lo, s15, v31, vcc_lo
	v_add_co_u32 v2, vcc_lo, s6, v30
	v_add_co_ci_u32_e32 v3, vcc_lo, s70, v31, vcc_lo
	global_load_b64 v[0:1], v[0:1], off
	global_load_b64 v[38:39], v[2:3], off
	s_waitcnt vmcnt(1)
	v_add_f64 v[34:35], v[0:1], -v[36:37]
	s_waitcnt vmcnt(0)
	v_add_f64 v[32:33], v[38:39], v[38:39]
	s_delay_alu instid0(VALU_DEP_1) | instskip(NEXT) | instid1(VALU_DEP_1)
	v_cmp_ngt_f64_e64 s1, |v[34:35]|, |v[32:33]|
	s_and_saveexec_b32 s58, s1
	s_delay_alu instid0(SALU_CYCLE_1)
	s_xor_b32 s1, exec_lo, s58
	s_cbranch_execz .LBB12_187
; %bb.182:                              ;   in Loop: Header=BB12_137 Depth=2
	v_cmp_nlt_f64_e64 s58, |v[34:35]|, |v[32:33]|
                                        ; implicit-def: $vgpr40_vgpr41
	s_delay_alu instid0(VALU_DEP_1) | instskip(NEXT) | instid1(SALU_CYCLE_1)
	s_and_saveexec_b32 s59, s58
	s_xor_b32 s58, exec_lo, s59
; %bb.183:                              ;   in Loop: Header=BB12_137 Depth=2
	v_mul_f64 v[40:41], |v[32:33]|, s[54:55]
; %bb.184:                              ;   in Loop: Header=BB12_137 Depth=2
	s_and_not1_saveexec_b32 s58, s58
	s_cbranch_execz .LBB12_186
; %bb.185:                              ;   in Loop: Header=BB12_137 Depth=2
	v_dual_mov_b32 v2, v34 :: v_dual_and_b32 v3, 0x7fffffff, v35
	v_dual_mov_b32 v40, v32 :: v_dual_and_b32 v41, 0x7fffffff, v33
	s_delay_alu instid0(VALU_DEP_1) | instskip(SKIP_1) | instid1(VALU_DEP_2)
	v_div_scale_f64 v[42:43], null, v[40:41], v[40:41], v[2:3]
	v_div_scale_f64 v[2:3], vcc_lo, v[2:3], v[40:41], v[2:3]
	v_rcp_f64_e32 v[44:45], v[42:43]
	s_waitcnt_depctr 0xfff
	v_fma_f64 v[46:47], -v[42:43], v[44:45], 1.0
	s_delay_alu instid0(VALU_DEP_1) | instskip(NEXT) | instid1(VALU_DEP_1)
	v_fma_f64 v[44:45], v[44:45], v[46:47], v[44:45]
	v_fma_f64 v[46:47], -v[42:43], v[44:45], 1.0
	s_delay_alu instid0(VALU_DEP_1) | instskip(NEXT) | instid1(VALU_DEP_1)
	v_fma_f64 v[40:41], v[44:45], v[46:47], v[44:45]
	v_mul_f64 v[44:45], v[2:3], v[40:41]
	s_delay_alu instid0(VALU_DEP_1) | instskip(NEXT) | instid1(VALU_DEP_1)
	v_fma_f64 v[2:3], -v[42:43], v[44:45], v[2:3]
	v_div_fmas_f64 v[2:3], v[2:3], v[40:41], v[44:45]
	s_delay_alu instid0(VALU_DEP_1) | instskip(NEXT) | instid1(VALU_DEP_1)
	v_div_fixup_f64 v[2:3], v[2:3], |v[32:33]|, |v[34:35]|
	v_fma_f64 v[2:3], v[2:3], v[2:3], 1.0
	s_delay_alu instid0(VALU_DEP_1) | instskip(SKIP_1) | instid1(VALU_DEP_1)
	v_cmp_gt_f64_e32 vcc_lo, 0x10000000, v[2:3]
	v_cndmask_b32_e64 v7, 0, 1, vcc_lo
	v_lshlrev_b32_e32 v7, 8, v7
	s_delay_alu instid0(VALU_DEP_1) | instskip(SKIP_1) | instid1(VALU_DEP_2)
	v_ldexp_f64 v[2:3], v[2:3], v7
	v_cndmask_b32_e64 v7, 0, 0xffffff80, vcc_lo
	v_rsq_f64_e32 v[40:41], v[2:3]
	v_cmp_class_f64_e64 vcc_lo, v[2:3], 0x260
	s_waitcnt_depctr 0xfff
	v_mul_f64 v[42:43], v[2:3], v[40:41]
	v_mul_f64 v[40:41], v[40:41], 0.5
	s_delay_alu instid0(VALU_DEP_1) | instskip(NEXT) | instid1(VALU_DEP_1)
	v_fma_f64 v[44:45], -v[40:41], v[42:43], 0.5
	v_fma_f64 v[42:43], v[42:43], v[44:45], v[42:43]
	v_fma_f64 v[40:41], v[40:41], v[44:45], v[40:41]
	s_delay_alu instid0(VALU_DEP_2) | instskip(NEXT) | instid1(VALU_DEP_1)
	v_fma_f64 v[44:45], -v[42:43], v[42:43], v[2:3]
	v_fma_f64 v[42:43], v[44:45], v[40:41], v[42:43]
	s_delay_alu instid0(VALU_DEP_1) | instskip(NEXT) | instid1(VALU_DEP_1)
	v_fma_f64 v[44:45], -v[42:43], v[42:43], v[2:3]
	v_fma_f64 v[40:41], v[44:45], v[40:41], v[42:43]
	s_delay_alu instid0(VALU_DEP_1) | instskip(NEXT) | instid1(VALU_DEP_1)
	v_ldexp_f64 v[40:41], v[40:41], v7
	v_dual_cndmask_b32 v2, v40, v2 :: v_dual_cndmask_b32 v3, v41, v3
	s_delay_alu instid0(VALU_DEP_1)
	v_mul_f64 v[40:41], |v[32:33]|, v[2:3]
.LBB12_186:                             ;   in Loop: Header=BB12_137 Depth=2
	s_or_b32 exec_lo, exec_lo, s58
.LBB12_187:                             ;   in Loop: Header=BB12_137 Depth=2
	s_and_not1_saveexec_b32 s1, s1
	s_cbranch_execz .LBB12_189
; %bb.188:                              ;   in Loop: Header=BB12_137 Depth=2
	v_dual_mov_b32 v2, v32 :: v_dual_and_b32 v3, 0x7fffffff, v33
	v_dual_mov_b32 v40, v34 :: v_dual_and_b32 v41, 0x7fffffff, v35
	s_delay_alu instid0(VALU_DEP_1) | instskip(SKIP_1) | instid1(VALU_DEP_2)
	v_div_scale_f64 v[42:43], null, v[40:41], v[40:41], v[2:3]
	v_div_scale_f64 v[2:3], vcc_lo, v[2:3], v[40:41], v[2:3]
	v_rcp_f64_e32 v[44:45], v[42:43]
	s_waitcnt_depctr 0xfff
	v_fma_f64 v[46:47], -v[42:43], v[44:45], 1.0
	s_delay_alu instid0(VALU_DEP_1) | instskip(NEXT) | instid1(VALU_DEP_1)
	v_fma_f64 v[44:45], v[44:45], v[46:47], v[44:45]
	v_fma_f64 v[46:47], -v[42:43], v[44:45], 1.0
	s_delay_alu instid0(VALU_DEP_1) | instskip(NEXT) | instid1(VALU_DEP_1)
	v_fma_f64 v[40:41], v[44:45], v[46:47], v[44:45]
	v_mul_f64 v[44:45], v[2:3], v[40:41]
	s_delay_alu instid0(VALU_DEP_1) | instskip(NEXT) | instid1(VALU_DEP_1)
	v_fma_f64 v[2:3], -v[42:43], v[44:45], v[2:3]
	v_div_fmas_f64 v[2:3], v[2:3], v[40:41], v[44:45]
	s_delay_alu instid0(VALU_DEP_1) | instskip(NEXT) | instid1(VALU_DEP_1)
	v_div_fixup_f64 v[2:3], v[2:3], |v[34:35]|, |v[32:33]|
	v_fma_f64 v[2:3], v[2:3], v[2:3], 1.0
	s_delay_alu instid0(VALU_DEP_1) | instskip(SKIP_1) | instid1(VALU_DEP_1)
	v_cmp_gt_f64_e32 vcc_lo, 0x10000000, v[2:3]
	v_cndmask_b32_e64 v7, 0, 1, vcc_lo
	v_lshlrev_b32_e32 v7, 8, v7
	s_delay_alu instid0(VALU_DEP_1) | instskip(SKIP_1) | instid1(VALU_DEP_2)
	v_ldexp_f64 v[2:3], v[2:3], v7
	v_cndmask_b32_e64 v7, 0, 0xffffff80, vcc_lo
	v_rsq_f64_e32 v[40:41], v[2:3]
	v_cmp_class_f64_e64 vcc_lo, v[2:3], 0x260
	s_waitcnt_depctr 0xfff
	v_mul_f64 v[42:43], v[2:3], v[40:41]
	v_mul_f64 v[40:41], v[40:41], 0.5
	s_delay_alu instid0(VALU_DEP_1) | instskip(NEXT) | instid1(VALU_DEP_1)
	v_fma_f64 v[44:45], -v[40:41], v[42:43], 0.5
	v_fma_f64 v[42:43], v[42:43], v[44:45], v[42:43]
	v_fma_f64 v[40:41], v[40:41], v[44:45], v[40:41]
	s_delay_alu instid0(VALU_DEP_2) | instskip(NEXT) | instid1(VALU_DEP_1)
	v_fma_f64 v[44:45], -v[42:43], v[42:43], v[2:3]
	v_fma_f64 v[42:43], v[44:45], v[40:41], v[42:43]
	s_delay_alu instid0(VALU_DEP_1) | instskip(NEXT) | instid1(VALU_DEP_1)
	v_fma_f64 v[44:45], -v[42:43], v[42:43], v[2:3]
	v_fma_f64 v[40:41], v[44:45], v[40:41], v[42:43]
	s_delay_alu instid0(VALU_DEP_1) | instskip(NEXT) | instid1(VALU_DEP_1)
	v_ldexp_f64 v[40:41], v[40:41], v7
	v_dual_cndmask_b32 v2, v40, v2 :: v_dual_cndmask_b32 v3, v41, v3
	s_delay_alu instid0(VALU_DEP_1)
	v_mul_f64 v[40:41], |v[34:35]|, v[2:3]
.LBB12_189:                             ;   in Loop: Header=BB12_137 Depth=2
	s_or_b32 exec_lo, exec_lo, s1
	v_cmp_gt_f64_e64 vcc_lo, |v[0:1]|, |v[36:37]|
	v_add_f64 v[44:45], v[36:37], v[0:1]
	s_mov_b32 s58, exec_lo
                                        ; implicit-def: $vgpr7
                                        ; implicit-def: $vgpr2_vgpr3
	v_dual_cndmask_b32 v43, v1, v37 :: v_dual_cndmask_b32 v42, v0, v36
	v_dual_cndmask_b32 v37, v37, v1 :: v_dual_cndmask_b32 v36, v36, v0
	s_delay_alu instid0(VALU_DEP_3)
	v_cmpx_ngt_f64_e32 0, v[44:45]
	s_xor_b32 s58, exec_lo, s58
	s_cbranch_execz .LBB12_195
; %bb.190:                              ;   in Loop: Header=BB12_137 Depth=2
	s_mov_b32 s59, exec_lo
                                        ; implicit-def: $sgpr1
                                        ; implicit-def: $vgpr2_vgpr3
	v_cmpx_nlt_f64_e32 0, v[44:45]
	s_xor_b32 s59, exec_lo, s59
; %bb.191:                              ;   in Loop: Header=BB12_137 Depth=2
	v_mul_f64 v[0:1], v[40:41], 0.5
	v_mul_f64 v[2:3], v[40:41], -0.5
	s_mov_b32 s1, 1
                                        ; implicit-def: $vgpr44_vgpr45
                                        ; implicit-def: $vgpr36_vgpr37
                                        ; implicit-def: $vgpr38_vgpr39
                                        ; implicit-def: $vgpr42_vgpr43
; %bb.192:                              ;   in Loop: Header=BB12_137 Depth=2
	s_or_saveexec_b32 s59, s59
	v_mov_b32_e32 v7, s1
	s_xor_b32 exec_lo, exec_lo, s59
	s_cbranch_execz .LBB12_194
; %bb.193:                              ;   in Loop: Header=BB12_137 Depth=2
	v_add_f64 v[0:1], v[44:45], v[40:41]
	v_mov_b32_e32 v7, 1
	s_delay_alu instid0(VALU_DEP_2) | instskip(NEXT) | instid1(VALU_DEP_1)
	v_mul_f64 v[0:1], v[0:1], 0.5
	v_div_scale_f64 v[2:3], null, v[0:1], v[0:1], v[36:37]
	v_div_scale_f64 v[44:45], null, v[0:1], v[0:1], v[38:39]
	v_div_scale_f64 v[58:59], vcc_lo, v[36:37], v[0:1], v[36:37]
	s_delay_alu instid0(VALU_DEP_3) | instskip(NEXT) | instid1(VALU_DEP_2)
	v_rcp_f64_e32 v[46:47], v[2:3]
	v_rcp_f64_e32 v[48:49], v[44:45]
	s_waitcnt_depctr 0xfff
	v_fma_f64 v[50:51], -v[2:3], v[46:47], 1.0
	v_fma_f64 v[52:53], -v[44:45], v[48:49], 1.0
	s_delay_alu instid0(VALU_DEP_2) | instskip(NEXT) | instid1(VALU_DEP_2)
	v_fma_f64 v[46:47], v[46:47], v[50:51], v[46:47]
	v_fma_f64 v[48:49], v[48:49], v[52:53], v[48:49]
	s_delay_alu instid0(VALU_DEP_2) | instskip(NEXT) | instid1(VALU_DEP_2)
	v_fma_f64 v[50:51], -v[2:3], v[46:47], 1.0
	v_fma_f64 v[52:53], -v[44:45], v[48:49], 1.0
	s_delay_alu instid0(VALU_DEP_2) | instskip(SKIP_1) | instid1(VALU_DEP_3)
	v_fma_f64 v[46:47], v[46:47], v[50:51], v[46:47]
	v_div_scale_f64 v[50:51], s1, v[38:39], v[0:1], v[38:39]
	v_fma_f64 v[48:49], v[48:49], v[52:53], v[48:49]
	s_delay_alu instid0(VALU_DEP_3) | instskip(NEXT) | instid1(VALU_DEP_2)
	v_mul_f64 v[52:53], v[58:59], v[46:47]
	v_mul_f64 v[60:61], v[50:51], v[48:49]
	s_delay_alu instid0(VALU_DEP_2) | instskip(NEXT) | instid1(VALU_DEP_2)
	v_fma_f64 v[2:3], -v[2:3], v[52:53], v[58:59]
	v_fma_f64 v[44:45], -v[44:45], v[60:61], v[50:51]
	s_delay_alu instid0(VALU_DEP_2) | instskip(SKIP_1) | instid1(VALU_DEP_2)
	v_div_fmas_f64 v[2:3], v[2:3], v[46:47], v[52:53]
	s_mov_b32 vcc_lo, s1
	v_div_fmas_f64 v[44:45], v[44:45], v[48:49], v[60:61]
	s_delay_alu instid0(VALU_DEP_2) | instskip(NEXT) | instid1(VALU_DEP_2)
	v_div_fixup_f64 v[2:3], v[2:3], v[0:1], v[36:37]
	v_div_fixup_f64 v[44:45], v[44:45], v[0:1], v[38:39]
	s_delay_alu instid0(VALU_DEP_1) | instskip(NEXT) | instid1(VALU_DEP_1)
	v_mul_f64 v[36:37], v[38:39], v[44:45]
	v_fma_f64 v[2:3], v[42:43], v[2:3], -v[36:37]
.LBB12_194:                             ;   in Loop: Header=BB12_137 Depth=2
	s_or_b32 exec_lo, exec_lo, s59
                                        ; implicit-def: $vgpr44_vgpr45
                                        ; implicit-def: $vgpr36_vgpr37
                                        ; implicit-def: $vgpr38_vgpr39
                                        ; implicit-def: $vgpr42_vgpr43
.LBB12_195:                             ;   in Loop: Header=BB12_137 Depth=2
	s_and_not1_saveexec_b32 s58, s58
	s_cbranch_execz .LBB12_197
; %bb.196:                              ;   in Loop: Header=BB12_137 Depth=2
	v_add_f64 v[0:1], v[44:45], -v[40:41]
	v_mov_b32_e32 v7, -1
	s_delay_alu instid0(VALU_DEP_2) | instskip(NEXT) | instid1(VALU_DEP_1)
	v_mul_f64 v[0:1], v[0:1], 0.5
	v_div_scale_f64 v[2:3], null, v[0:1], v[0:1], v[36:37]
	v_div_scale_f64 v[44:45], null, v[0:1], v[0:1], v[38:39]
	v_div_scale_f64 v[58:59], vcc_lo, v[36:37], v[0:1], v[36:37]
	s_delay_alu instid0(VALU_DEP_3) | instskip(NEXT) | instid1(VALU_DEP_2)
	v_rcp_f64_e32 v[46:47], v[2:3]
	v_rcp_f64_e32 v[48:49], v[44:45]
	s_waitcnt_depctr 0xfff
	v_fma_f64 v[50:51], -v[2:3], v[46:47], 1.0
	v_fma_f64 v[52:53], -v[44:45], v[48:49], 1.0
	s_delay_alu instid0(VALU_DEP_2) | instskip(NEXT) | instid1(VALU_DEP_2)
	v_fma_f64 v[46:47], v[46:47], v[50:51], v[46:47]
	v_fma_f64 v[48:49], v[48:49], v[52:53], v[48:49]
	s_delay_alu instid0(VALU_DEP_2) | instskip(NEXT) | instid1(VALU_DEP_2)
	v_fma_f64 v[50:51], -v[2:3], v[46:47], 1.0
	v_fma_f64 v[52:53], -v[44:45], v[48:49], 1.0
	s_delay_alu instid0(VALU_DEP_2) | instskip(SKIP_1) | instid1(VALU_DEP_3)
	v_fma_f64 v[46:47], v[46:47], v[50:51], v[46:47]
	v_div_scale_f64 v[50:51], s1, v[38:39], v[0:1], v[38:39]
	v_fma_f64 v[48:49], v[48:49], v[52:53], v[48:49]
	s_delay_alu instid0(VALU_DEP_3) | instskip(NEXT) | instid1(VALU_DEP_2)
	v_mul_f64 v[52:53], v[58:59], v[46:47]
	v_mul_f64 v[60:61], v[50:51], v[48:49]
	s_delay_alu instid0(VALU_DEP_2) | instskip(NEXT) | instid1(VALU_DEP_2)
	v_fma_f64 v[2:3], -v[2:3], v[52:53], v[58:59]
	v_fma_f64 v[44:45], -v[44:45], v[60:61], v[50:51]
	s_delay_alu instid0(VALU_DEP_2) | instskip(SKIP_1) | instid1(VALU_DEP_2)
	v_div_fmas_f64 v[2:3], v[2:3], v[46:47], v[52:53]
	s_mov_b32 vcc_lo, s1
	v_div_fmas_f64 v[44:45], v[44:45], v[48:49], v[60:61]
	s_delay_alu instid0(VALU_DEP_2) | instskip(NEXT) | instid1(VALU_DEP_2)
	v_div_fixup_f64 v[2:3], v[2:3], v[0:1], v[36:37]
	v_div_fixup_f64 v[44:45], v[44:45], v[0:1], v[38:39]
	s_delay_alu instid0(VALU_DEP_1) | instskip(NEXT) | instid1(VALU_DEP_1)
	v_mul_f64 v[36:37], v[38:39], v[44:45]
	v_fma_f64 v[2:3], v[42:43], v[2:3], -v[36:37]
.LBB12_197:                             ;   in Loop: Header=BB12_137 Depth=2
	s_or_b32 exec_lo, exec_lo, s58
	s_delay_alu instid0(SALU_CYCLE_1)
	s_mov_b32 s58, exec_lo
                                        ; implicit-def: $vgpr36_vgpr37
                                        ; implicit-def: $sgpr1
	v_cmpx_le_f64_e32 0, v[34:35]
	s_xor_b32 s58, exec_lo, s58
; %bb.198:                              ;   in Loop: Header=BB12_137 Depth=2
	v_add_f64 v[36:37], v[34:35], v[40:41]
	s_mov_b32 s1, 1
                                        ; implicit-def: $vgpr34_vgpr35
                                        ; implicit-def: $vgpr40_vgpr41
; %bb.199:                              ;   in Loop: Header=BB12_137 Depth=2
	s_or_saveexec_b32 s58, s58
	v_mov_b32_e32 v27, s1
	s_xor_b32 exec_lo, exec_lo, s58
; %bb.200:                              ;   in Loop: Header=BB12_137 Depth=2
	v_add_f64 v[36:37], v[34:35], -v[40:41]
	v_mov_b32_e32 v27, -1
; %bb.201:                              ;   in Loop: Header=BB12_137 Depth=2
	s_or_b32 exec_lo, exec_lo, s58
	s_delay_alu instid0(VALU_DEP_2) | instskip(NEXT) | instid1(VALU_DEP_1)
	v_cmp_ngt_f64_e64 s1, |v[36:37]|, |v[32:33]|
                                        ; implicit-def: $vgpr34_vgpr35
                                        ; implicit-def: $vgpr38_vgpr39
	s_and_saveexec_b32 s58, s1
	s_delay_alu instid0(SALU_CYCLE_1)
	s_xor_b32 s1, exec_lo, s58
	s_cbranch_execz .LBB12_205
; %bb.202:                              ;   in Loop: Header=BB12_137 Depth=2
	v_mov_b32_e32 v34, 0
	v_dual_mov_b32 v35, 0 :: v_dual_mov_b32 v38, 0
	v_mov_b32_e32 v39, 0x3ff00000
	s_mov_b32 s58, exec_lo
	v_cmpx_neq_f64_e32 0, v[32:33]
	s_cbranch_execz .LBB12_204
; %bb.203:                              ;   in Loop: Header=BB12_137 Depth=2
	v_div_scale_f64 v[34:35], null, v[32:33], v[32:33], -v[36:37]
	v_div_scale_f64 v[42:43], vcc_lo, -v[36:37], v[32:33], -v[36:37]
	s_delay_alu instid0(VALU_DEP_2) | instskip(SKIP_2) | instid1(VALU_DEP_1)
	v_rcp_f64_e32 v[38:39], v[34:35]
	s_waitcnt_depctr 0xfff
	v_fma_f64 v[40:41], -v[34:35], v[38:39], 1.0
	v_fma_f64 v[38:39], v[38:39], v[40:41], v[38:39]
	s_delay_alu instid0(VALU_DEP_1) | instskip(NEXT) | instid1(VALU_DEP_1)
	v_fma_f64 v[40:41], -v[34:35], v[38:39], 1.0
	v_fma_f64 v[38:39], v[38:39], v[40:41], v[38:39]
	s_delay_alu instid0(VALU_DEP_1) | instskip(NEXT) | instid1(VALU_DEP_1)
	v_mul_f64 v[40:41], v[42:43], v[38:39]
	v_fma_f64 v[34:35], -v[34:35], v[40:41], v[42:43]
	s_delay_alu instid0(VALU_DEP_1) | instskip(NEXT) | instid1(VALU_DEP_1)
	v_div_fmas_f64 v[34:35], v[34:35], v[38:39], v[40:41]
	v_div_fixup_f64 v[32:33], v[34:35], v[32:33], -v[36:37]
	s_delay_alu instid0(VALU_DEP_1) | instskip(NEXT) | instid1(VALU_DEP_1)
	v_fma_f64 v[34:35], v[32:33], v[32:33], 1.0
	v_cmp_gt_f64_e32 vcc_lo, 0x10000000, v[34:35]
	v_cndmask_b32_e64 v36, 0, 1, vcc_lo
	s_delay_alu instid0(VALU_DEP_1) | instskip(NEXT) | instid1(VALU_DEP_1)
	v_lshlrev_b32_e32 v36, 8, v36
	v_ldexp_f64 v[34:35], v[34:35], v36
	s_delay_alu instid0(VALU_DEP_1) | instskip(SKIP_3) | instid1(VALU_DEP_1)
	v_rsq_f64_e32 v[36:37], v[34:35]
	s_waitcnt_depctr 0xfff
	v_mul_f64 v[38:39], v[34:35], v[36:37]
	v_mul_f64 v[36:37], v[36:37], 0.5
	v_fma_f64 v[40:41], -v[36:37], v[38:39], 0.5
	s_delay_alu instid0(VALU_DEP_1) | instskip(SKIP_1) | instid1(VALU_DEP_2)
	v_fma_f64 v[38:39], v[38:39], v[40:41], v[38:39]
	v_fma_f64 v[36:37], v[36:37], v[40:41], v[36:37]
	v_fma_f64 v[40:41], -v[38:39], v[38:39], v[34:35]
	s_delay_alu instid0(VALU_DEP_1) | instskip(NEXT) | instid1(VALU_DEP_1)
	v_fma_f64 v[38:39], v[40:41], v[36:37], v[38:39]
	v_fma_f64 v[40:41], -v[38:39], v[38:39], v[34:35]
	s_delay_alu instid0(VALU_DEP_1) | instskip(SKIP_2) | instid1(VALU_DEP_2)
	v_fma_f64 v[36:37], v[40:41], v[36:37], v[38:39]
	v_cndmask_b32_e64 v38, 0, 0xffffff80, vcc_lo
	v_cmp_class_f64_e64 vcc_lo, v[34:35], 0x260
	v_ldexp_f64 v[36:37], v[36:37], v38
	s_delay_alu instid0(VALU_DEP_1) | instskip(NEXT) | instid1(VALU_DEP_1)
	v_dual_cndmask_b32 v35, v37, v35 :: v_dual_cndmask_b32 v34, v36, v34
	v_div_scale_f64 v[36:37], null, v[34:35], v[34:35], 1.0
	s_delay_alu instid0(VALU_DEP_1) | instskip(SKIP_2) | instid1(VALU_DEP_1)
	v_rcp_f64_e32 v[38:39], v[36:37]
	s_waitcnt_depctr 0xfff
	v_fma_f64 v[40:41], -v[36:37], v[38:39], 1.0
	v_fma_f64 v[38:39], v[38:39], v[40:41], v[38:39]
	s_delay_alu instid0(VALU_DEP_1) | instskip(NEXT) | instid1(VALU_DEP_1)
	v_fma_f64 v[40:41], -v[36:37], v[38:39], 1.0
	v_fma_f64 v[38:39], v[38:39], v[40:41], v[38:39]
	v_div_scale_f64 v[40:41], vcc_lo, 1.0, v[34:35], 1.0
	s_delay_alu instid0(VALU_DEP_1) | instskip(NEXT) | instid1(VALU_DEP_1)
	v_mul_f64 v[42:43], v[40:41], v[38:39]
	v_fma_f64 v[36:37], -v[36:37], v[42:43], v[40:41]
	s_delay_alu instid0(VALU_DEP_1) | instskip(NEXT) | instid1(VALU_DEP_1)
	v_div_fmas_f64 v[36:37], v[36:37], v[38:39], v[42:43]
	v_div_fixup_f64 v[38:39], v[36:37], v[34:35], 1.0
	s_delay_alu instid0(VALU_DEP_1)
	v_mul_f64 v[34:35], v[32:33], v[38:39]
.LBB12_204:                             ;   in Loop: Header=BB12_137 Depth=2
	s_or_b32 exec_lo, exec_lo, s58
                                        ; implicit-def: $vgpr36_vgpr37
                                        ; implicit-def: $vgpr32_vgpr33
.LBB12_205:                             ;   in Loop: Header=BB12_137 Depth=2
	s_and_not1_saveexec_b32 s1, s1
	s_cbranch_execz .LBB12_207
; %bb.206:                              ;   in Loop: Header=BB12_137 Depth=2
	v_div_scale_f64 v[34:35], null, v[36:37], v[36:37], -v[32:33]
	v_div_scale_f64 v[42:43], vcc_lo, -v[32:33], v[36:37], -v[32:33]
	s_delay_alu instid0(VALU_DEP_2) | instskip(SKIP_2) | instid1(VALU_DEP_1)
	v_rcp_f64_e32 v[38:39], v[34:35]
	s_waitcnt_depctr 0xfff
	v_fma_f64 v[40:41], -v[34:35], v[38:39], 1.0
	v_fma_f64 v[38:39], v[38:39], v[40:41], v[38:39]
	s_delay_alu instid0(VALU_DEP_1) | instskip(NEXT) | instid1(VALU_DEP_1)
	v_fma_f64 v[40:41], -v[34:35], v[38:39], 1.0
	v_fma_f64 v[38:39], v[38:39], v[40:41], v[38:39]
	s_delay_alu instid0(VALU_DEP_1) | instskip(NEXT) | instid1(VALU_DEP_1)
	v_mul_f64 v[40:41], v[42:43], v[38:39]
	v_fma_f64 v[34:35], -v[34:35], v[40:41], v[42:43]
	s_delay_alu instid0(VALU_DEP_1) | instskip(NEXT) | instid1(VALU_DEP_1)
	v_div_fmas_f64 v[34:35], v[34:35], v[38:39], v[40:41]
	v_div_fixup_f64 v[32:33], v[34:35], v[36:37], -v[32:33]
	s_delay_alu instid0(VALU_DEP_1) | instskip(NEXT) | instid1(VALU_DEP_1)
	v_fma_f64 v[34:35], v[32:33], v[32:33], 1.0
	v_cmp_gt_f64_e32 vcc_lo, 0x10000000, v[34:35]
	v_cndmask_b32_e64 v36, 0, 1, vcc_lo
	s_delay_alu instid0(VALU_DEP_1) | instskip(NEXT) | instid1(VALU_DEP_1)
	v_lshlrev_b32_e32 v36, 8, v36
	v_ldexp_f64 v[34:35], v[34:35], v36
	s_delay_alu instid0(VALU_DEP_1) | instskip(SKIP_3) | instid1(VALU_DEP_1)
	v_rsq_f64_e32 v[36:37], v[34:35]
	s_waitcnt_depctr 0xfff
	v_mul_f64 v[38:39], v[34:35], v[36:37]
	v_mul_f64 v[36:37], v[36:37], 0.5
	v_fma_f64 v[40:41], -v[36:37], v[38:39], 0.5
	s_delay_alu instid0(VALU_DEP_1) | instskip(SKIP_1) | instid1(VALU_DEP_2)
	v_fma_f64 v[38:39], v[38:39], v[40:41], v[38:39]
	v_fma_f64 v[36:37], v[36:37], v[40:41], v[36:37]
	v_fma_f64 v[40:41], -v[38:39], v[38:39], v[34:35]
	s_delay_alu instid0(VALU_DEP_1) | instskip(NEXT) | instid1(VALU_DEP_1)
	v_fma_f64 v[38:39], v[40:41], v[36:37], v[38:39]
	v_fma_f64 v[40:41], -v[38:39], v[38:39], v[34:35]
	s_delay_alu instid0(VALU_DEP_1) | instskip(SKIP_2) | instid1(VALU_DEP_2)
	v_fma_f64 v[36:37], v[40:41], v[36:37], v[38:39]
	v_cndmask_b32_e64 v38, 0, 0xffffff80, vcc_lo
	v_cmp_class_f64_e64 vcc_lo, v[34:35], 0x260
	v_ldexp_f64 v[36:37], v[36:37], v38
	s_delay_alu instid0(VALU_DEP_1) | instskip(NEXT) | instid1(VALU_DEP_1)
	v_dual_cndmask_b32 v35, v37, v35 :: v_dual_cndmask_b32 v34, v36, v34
	v_div_scale_f64 v[36:37], null, v[34:35], v[34:35], 1.0
	s_delay_alu instid0(VALU_DEP_1) | instskip(SKIP_2) | instid1(VALU_DEP_1)
	v_rcp_f64_e32 v[38:39], v[36:37]
	s_waitcnt_depctr 0xfff
	v_fma_f64 v[40:41], -v[36:37], v[38:39], 1.0
	v_fma_f64 v[38:39], v[38:39], v[40:41], v[38:39]
	s_delay_alu instid0(VALU_DEP_1) | instskip(NEXT) | instid1(VALU_DEP_1)
	v_fma_f64 v[40:41], -v[36:37], v[38:39], 1.0
	v_fma_f64 v[38:39], v[38:39], v[40:41], v[38:39]
	v_div_scale_f64 v[40:41], vcc_lo, 1.0, v[34:35], 1.0
	s_delay_alu instid0(VALU_DEP_1) | instskip(NEXT) | instid1(VALU_DEP_1)
	v_mul_f64 v[42:43], v[40:41], v[38:39]
	v_fma_f64 v[36:37], -v[36:37], v[42:43], v[40:41]
	s_delay_alu instid0(VALU_DEP_1) | instskip(NEXT) | instid1(VALU_DEP_1)
	v_div_fmas_f64 v[36:37], v[36:37], v[38:39], v[42:43]
	v_div_fixup_f64 v[34:35], v[36:37], v[34:35], 1.0
	s_delay_alu instid0(VALU_DEP_1)
	v_mul_f64 v[38:39], v[32:33], v[34:35]
.LBB12_207:                             ;   in Loop: Header=BB12_137 Depth=2
	s_or_b32 exec_lo, exec_lo, s1
	s_delay_alu instid0(VALU_DEP_1) | instskip(SKIP_2) | instid1(VALU_DEP_1)
	v_xor_b32_e32 v32, 0x80000000, v35
	v_cmp_eq_u32_e32 vcc_lo, v7, v27
	v_add_co_u32 v30, s1, s73, v30
	v_add_co_ci_u32_e64 v31, s1, s74, v31, s1
	s_delay_alu instid0(VALU_DEP_4) | instskip(SKIP_1) | instid1(VALU_DEP_4)
	v_dual_cndmask_b32 v33, v39, v32 :: v_dual_cndmask_b32 v32, v38, v34
	v_dual_cndmask_b32 v35, v35, v39 :: v_dual_cndmask_b32 v34, v34, v38
	v_add_co_u32 v36, vcc_lo, v30, s46
	s_delay_alu instid0(VALU_DEP_4)
	v_add_co_ci_u32_e32 v37, vcc_lo, s47, v31, vcc_lo
	v_dual_mov_b32 v7, v6 :: v_dual_add_nc_u32 v24, -2, v24
	v_add_co_u32 v27, vcc_lo, s42, v28
	v_add_co_ci_u32_e32 v28, vcc_lo, s43, v29, vcc_lo
	s_clause 0x1
	global_store_b64 v[30:31], v[32:33], off
	global_store_b64 v[36:37], v[34:35], off offset:-8
	global_store_b128 v[25:26], v[0:3], off offset:-8
	global_store_b64 v[27:28], v[6:7], off
	ds_store_b32 v6, v24 offset:16
	s_or_b32 exec_lo, exec_lo, s56
                                        ; implicit-def: $vgpr1
.LBB12_208:                             ;   in Loop: Header=BB12_137 Depth=2
	s_and_not1_saveexec_b32 s1, s35
	s_cbranch_execz .LBB12_210
.LBB12_209:                             ;   in Loop: Header=BB12_137 Depth=2
	ds_store_b32 v6, v1 offset:16
.LBB12_210:                             ;   in Loop: Header=BB12_137 Depth=2
	s_or_b32 exec_lo, exec_lo, s1
.LBB12_211:                             ;   in Loop: Header=BB12_137 Depth=2
	s_delay_alu instid0(SALU_CYCLE_1)
	s_or_b32 exec_lo, exec_lo, s3
	s_waitcnt lgkmcnt(0)
	s_waitcnt_vscnt null, 0x0
	s_barrier
	buffer_gl0_inv
	ds_load_b64 v[0:1], v6 offset:16
	s_waitcnt lgkmcnt(0)
	v_readfirstlane_b32 s58, v1
	s_delay_alu instid0(VALU_DEP_1)
	v_cmp_eq_u32_e32 vcc_lo, s58, v0
	v_mov_b32_e32 v24, s58
	s_cbranch_vccnz .LBB12_136
; %bb.212:                              ;   in Loop: Header=BB12_137 Depth=2
	s_and_saveexec_b32 s3, s0
	s_cbranch_execz .LBB12_135
; %bb.213:                              ;   in Loop: Header=BB12_137 Depth=2
	ds_load_b32 v0, v6 offset:28
	s_ashr_i32 s59, s58, 31
	s_mul_i32 s60, s58, s7
	s_lshl_b64 s[62:63], s[58:59], 3
	v_mov_b32_e32 v2, v4
	s_waitcnt lgkmcnt(0)
	v_readfirstlane_b32 s1, v0
	s_delay_alu instid0(VALU_DEP_1)
	s_sub_i32 s35, s1, s58
	s_add_u32 s58, s73, s62
	s_addc_u32 s59, s74, s63
	s_ashr_i32 s61, s60, 31
	s_mul_hi_i32 s65, s35, s40
	s_lshl_b64 s[60:61], s[60:61], 3
	s_mul_i32 s64, s35, s40
	s_add_u32 s56, s71, s60
	s_addc_u32 s62, s72, s61
	s_cmp_gt_i32 s35, 0
	v_add_co_u32 v0, vcc_lo, v5, s60
	v_add_co_ci_u32_e32 v1, vcc_lo, s61, v55, vcc_lo
	s_cselect_b32 s63, -1, 0
	s_lshl_b64 s[60:61], s[64:65], 3
	s_mov_b32 s64, 0
	s_add_u32 s65, s56, s60
	s_addc_u32 s66, s62, s61
	s_branch .LBB12_215
.LBB12_214:                             ;   in Loop: Header=BB12_215 Depth=3
	v_add_nc_u32_e32 v2, s28, v2
	v_add_co_u32 v26, vcc_lo, s65, v26
	v_add_co_ci_u32_e32 v27, vcc_lo, s66, v27, vcc_lo
	s_delay_alu instid0(VALU_DEP_3) | instskip(SKIP_1) | instid1(VALU_DEP_1)
	v_cmp_le_i32_e32 vcc_lo, s24, v2
	v_add_co_u32 v0, s1, v0, s48
	v_add_co_ci_u32_e64 v1, s1, s49, v1, s1
	s_or_b32 s64, vcc_lo, s64
	s_waitcnt vmcnt(0)
	global_store_b64 v[26:27], v[24:25], off
	s_and_not1_b32 exec_lo, exec_lo, s64
	s_cbranch_execz .LBB12_135
.LBB12_215:                             ;   Parent Loop BB12_7 Depth=1
                                        ;     Parent Loop BB12_137 Depth=2
                                        ; =>    This Loop Header: Depth=3
                                        ;         Child Loop BB12_216 Depth 4
	v_ashrrev_i32_e32 v3, 31, v2
	v_dual_mov_b32 v29, v1 :: v_dual_mov_b32 v28, v0
	s_mov_b64 s[60:61], s[58:59]
	s_mov_b32 s1, s35
	s_delay_alu instid0(VALU_DEP_2) | instskip(NEXT) | instid1(VALU_DEP_1)
	v_lshlrev_b64 v[26:27], 3, v[2:3]
	v_add_co_u32 v24, vcc_lo, s56, v26
	s_delay_alu instid0(VALU_DEP_2)
	v_add_co_ci_u32_e32 v25, vcc_lo, s62, v27, vcc_lo
	s_and_not1_b32 vcc_lo, exec_lo, s63
	global_load_b64 v[24:25], v[24:25], off
	s_cbranch_vccnz .LBB12_214
	.p2align	6
.LBB12_216:                             ;   Parent Loop BB12_7 Depth=1
                                        ;     Parent Loop BB12_137 Depth=2
                                        ;       Parent Loop BB12_215 Depth=3
                                        ; =>      This Inner Loop Header: Depth=4
	s_delay_alu instid0(VALU_DEP_1) | instskip(NEXT) | instid1(VALU_DEP_2)
	v_add_co_u32 v30, vcc_lo, v28, s52
	v_add_co_ci_u32_e32 v31, vcc_lo, s53, v29, vcc_lo
	s_add_u32 s68, s60, s25
	s_addc_u32 s69, s61, s29
	global_load_b64 v[32:33], v6, s[68:69]
	global_load_b64 v[34:35], v[30:31], off
	global_load_b64 v[36:37], v6, s[60:61]
	s_add_i32 s1, s1, -1
	s_add_u32 s60, s60, 8
	s_addc_u32 s61, s61, 0
	s_cmp_eq_u32 s1, 0
	s_waitcnt vmcnt(1)
	v_mul_f64 v[38:39], v[32:33], v[34:35]
	v_mul_f64 v[32:33], v[24:25], v[32:33]
	s_waitcnt vmcnt(0)
	s_delay_alu instid0(VALU_DEP_2) | instskip(NEXT) | instid1(VALU_DEP_2)
	v_fma_f64 v[38:39], v[24:25], v[36:37], v[38:39]
	v_fma_f64 v[24:25], v[36:37], v[34:35], -v[32:33]
	global_store_b64 v[28:29], v[38:39], off
	v_dual_mov_b32 v28, v30 :: v_dual_mov_b32 v29, v31
	s_cbranch_scc0 .LBB12_216
	s_branch .LBB12_214
.LBB12_217:                             ;   in Loop: Header=BB12_137 Depth=2
	s_or_b32 exec_lo, exec_lo, s56
                                        ; implicit-def: $vgpr1
	s_and_not1_saveexec_b32 s1, s35
	s_cbranch_execnz .LBB12_209
	s_branch .LBB12_210
.LBB12_218:                             ;   in Loop: Header=BB12_7 Depth=1
	v_mov_b32_e32 v29, v21
	v_dual_mov_b32 v31, v23 :: v_dual_mov_b32 v30, v22
	v_dual_mov_b32 v25, v57 :: v_dual_mov_b32 v28, v20
.LBB12_219:                             ;   in Loop: Header=BB12_7 Depth=1
	s_barrier
	buffer_gl0_inv
	ds_load_b64 v[0:1], v6 offset:8
	s_waitcnt lgkmcnt(0)
	v_cmp_nlt_f64_e32 vcc_lo, s[38:39], v[0:1]
	s_cbranch_vccnz .LBB12_226
; %bb.220:                              ;   in Loop: Header=BB12_7 Depth=1
	v_div_scale_f64 v[2:3], null, v[0:1], v[0:1], s[38:39]
	s_delay_alu instid0(VALU_DEP_1) | instskip(SKIP_2) | instid1(VALU_DEP_1)
	v_rcp_f64_e32 v[20:21], v[2:3]
	s_waitcnt_depctr 0xfff
	v_fma_f64 v[22:23], -v[2:3], v[20:21], 1.0
	v_fma_f64 v[20:21], v[20:21], v[22:23], v[20:21]
	s_delay_alu instid0(VALU_DEP_1) | instskip(NEXT) | instid1(VALU_DEP_1)
	v_fma_f64 v[22:23], -v[2:3], v[20:21], 1.0
	v_fma_f64 v[20:21], v[20:21], v[22:23], v[20:21]
	v_div_scale_f64 v[22:23], vcc_lo, s[38:39], v[0:1], s[38:39]
	s_delay_alu instid0(VALU_DEP_1) | instskip(NEXT) | instid1(VALU_DEP_1)
	v_mul_f64 v[26:27], v[22:23], v[20:21]
	v_fma_f64 v[2:3], -v[2:3], v[26:27], v[22:23]
	s_delay_alu instid0(VALU_DEP_1)
	v_div_fmas_f64 v[2:3], v[2:3], v[20:21], v[26:27]
	ds_load_2addr_b32 v[20:21], v6 offset0:7 offset1:10
	v_div_fixup_f64 v[2:3], v[2:3], v[0:1], s[38:39]
	s_and_saveexec_b32 s1, s2
	s_cbranch_execz .LBB12_222
; %bb.221:                              ;   in Loop: Header=BB12_7 Depth=1
	s_waitcnt lgkmcnt(0)
	v_ashrrev_i32_e32 v23, 31, v21
	v_mov_b32_e32 v22, v21
	s_delay_alu instid0(VALU_DEP_1) | instskip(NEXT) | instid1(VALU_DEP_1)
	v_lshlrev_b64 v[22:23], 3, v[22:23]
	v_add_co_u32 v22, vcc_lo, s14, v22
	s_delay_alu instid0(VALU_DEP_2)
	v_add_co_ci_u32_e32 v23, vcc_lo, s15, v23, vcc_lo
	global_load_b64 v[26:27], v[22:23], off
	s_waitcnt vmcnt(0)
	v_mul_f64 v[26:27], v[2:3], v[26:27]
	global_store_b64 v[22:23], v[26:27], off
.LBB12_222:                             ;   in Loop: Header=BB12_7 Depth=1
	s_or_b32 exec_lo, exec_lo, s1
	s_waitcnt lgkmcnt(0)
	v_add_nc_u32_e32 v22, v20, v4
	s_mov_b32 s3, exec_lo
	s_delay_alu instid0(VALU_DEP_1)
	v_cmpx_lt_i32_e64 v22, v21
	s_cbranch_execz .LBB12_225
; %bb.223:                              ;   in Loop: Header=BB12_7 Depth=1
	v_ashrrev_i32_e32 v23, 31, v22
	s_mov_b32 s35, 0
	s_delay_alu instid0(VALU_DEP_1)
	v_lshlrev_b64 v[23:24], 3, v[22:23]
	.p2align	6
.LBB12_224:                             ;   Parent Loop BB12_7 Depth=1
                                        ; =>  This Inner Loop Header: Depth=2
	s_delay_alu instid0(VALU_DEP_1) | instskip(NEXT) | instid1(VALU_DEP_2)
	v_add_co_u32 v26, vcc_lo, s14, v23
	v_add_co_ci_u32_e32 v27, vcc_lo, s15, v24, vcc_lo
	v_add_co_u32 v34, vcc_lo, s6, v23
	v_add_co_ci_u32_e32 v35, vcc_lo, s70, v24, vcc_lo
	global_load_b64 v[32:33], v[26:27], off
	v_add_nc_u32_e32 v22, s28, v22
	v_add_co_u32 v23, s1, v23, s48
	s_delay_alu instid0(VALU_DEP_1) | instskip(NEXT) | instid1(VALU_DEP_3)
	v_add_co_ci_u32_e64 v24, s1, s49, v24, s1
	v_cmp_ge_i32_e32 vcc_lo, v22, v21
	s_or_b32 s35, vcc_lo, s35
	s_waitcnt vmcnt(0)
	v_mul_f64 v[32:33], v[2:3], v[32:33]
	global_store_b64 v[26:27], v[32:33], off
	global_load_b64 v[26:27], v[34:35], off
	s_waitcnt vmcnt(0)
	v_mul_f64 v[26:27], v[2:3], v[26:27]
	global_store_b64 v[34:35], v[26:27], off
	s_and_not1_b32 exec_lo, exec_lo, s35
	s_cbranch_execnz .LBB12_224
.LBB12_225:                             ;   in Loop: Header=BB12_7 Depth=1
	s_or_b32 exec_lo, exec_lo, s3
.LBB12_226:                             ;   in Loop: Header=BB12_7 Depth=1
	v_cmp_ngt_f64_e32 vcc_lo, s[22:23], v[0:1]
	s_cbranch_vccnz .LBB12_5
; %bb.227:                              ;   in Loop: Header=BB12_7 Depth=1
	v_div_scale_f64 v[2:3], null, v[0:1], v[0:1], s[22:23]
	s_delay_alu instid0(VALU_DEP_1) | instskip(SKIP_2) | instid1(VALU_DEP_1)
	v_rcp_f64_e32 v[20:21], v[2:3]
	s_waitcnt_depctr 0xfff
	v_fma_f64 v[22:23], -v[2:3], v[20:21], 1.0
	v_fma_f64 v[20:21], v[20:21], v[22:23], v[20:21]
	s_delay_alu instid0(VALU_DEP_1) | instskip(NEXT) | instid1(VALU_DEP_1)
	v_fma_f64 v[22:23], -v[2:3], v[20:21], 1.0
	v_fma_f64 v[20:21], v[20:21], v[22:23], v[20:21]
	v_div_scale_f64 v[22:23], vcc_lo, s[22:23], v[0:1], s[22:23]
	s_delay_alu instid0(VALU_DEP_1) | instskip(NEXT) | instid1(VALU_DEP_1)
	v_mul_f64 v[26:27], v[22:23], v[20:21]
	v_fma_f64 v[2:3], -v[2:3], v[26:27], v[22:23]
	s_delay_alu instid0(VALU_DEP_1) | instskip(NEXT) | instid1(VALU_DEP_1)
	v_div_fmas_f64 v[2:3], v[2:3], v[20:21], v[26:27]
	v_div_fixup_f64 v[0:1], v[2:3], v[0:1], s[22:23]
	ds_load_2addr_b32 v[2:3], v6 offset0:7 offset1:10
	s_and_saveexec_b32 s1, s2
	s_cbranch_execz .LBB12_229
; %bb.228:                              ;   in Loop: Header=BB12_7 Depth=1
	s_waitcnt lgkmcnt(0)
	v_ashrrev_i32_e32 v21, 31, v3
	v_mov_b32_e32 v20, v3
	s_delay_alu instid0(VALU_DEP_1) | instskip(NEXT) | instid1(VALU_DEP_1)
	v_lshlrev_b64 v[20:21], 3, v[20:21]
	v_add_co_u32 v20, vcc_lo, s14, v20
	s_delay_alu instid0(VALU_DEP_2)
	v_add_co_ci_u32_e32 v21, vcc_lo, s15, v21, vcc_lo
	global_load_b64 v[22:23], v[20:21], off
	s_waitcnt vmcnt(0)
	v_mul_f64 v[22:23], v[0:1], v[22:23]
	global_store_b64 v[20:21], v[22:23], off
.LBB12_229:                             ;   in Loop: Header=BB12_7 Depth=1
	s_or_b32 exec_lo, exec_lo, s1
	s_waitcnt lgkmcnt(0)
	v_add_nc_u32_e32 v20, v2, v4
	s_mov_b32 s3, exec_lo
	s_delay_alu instid0(VALU_DEP_1)
	v_cmpx_lt_i32_e64 v20, v3
	s_cbranch_execz .LBB12_4
; %bb.230:                              ;   in Loop: Header=BB12_7 Depth=1
	v_ashrrev_i32_e32 v21, 31, v20
	s_mov_b32 s35, 0
	s_delay_alu instid0(VALU_DEP_1)
	v_lshlrev_b64 v[21:22], 3, v[20:21]
	.p2align	6
.LBB12_231:                             ;   Parent Loop BB12_7 Depth=1
                                        ; =>  This Inner Loop Header: Depth=2
	s_delay_alu instid0(VALU_DEP_1) | instskip(NEXT) | instid1(VALU_DEP_2)
	v_add_co_u32 v23, vcc_lo, s14, v21
	v_add_co_ci_u32_e32 v24, vcc_lo, s15, v22, vcc_lo
	v_add_co_u32 v32, vcc_lo, s6, v21
	v_add_co_ci_u32_e32 v33, vcc_lo, s70, v22, vcc_lo
	global_load_b64 v[26:27], v[23:24], off
	v_add_nc_u32_e32 v20, s28, v20
	v_add_co_u32 v21, s1, v21, s48
	s_delay_alu instid0(VALU_DEP_1) | instskip(NEXT) | instid1(VALU_DEP_3)
	v_add_co_ci_u32_e64 v22, s1, s49, v22, s1
	v_cmp_ge_i32_e32 vcc_lo, v20, v3
	s_or_b32 s35, vcc_lo, s35
	s_waitcnt vmcnt(0)
	v_mul_f64 v[26:27], v[0:1], v[26:27]
	global_store_b64 v[23:24], v[26:27], off
	global_load_b64 v[23:24], v[32:33], off
	s_waitcnt vmcnt(0)
	v_mul_f64 v[23:24], v[0:1], v[23:24]
	global_store_b64 v[32:33], v[23:24], off
	s_and_not1_b32 exec_lo, exec_lo, s35
	s_cbranch_execnz .LBB12_231
	s_branch .LBB12_4
.LBB12_232:
	s_mov_b32 s1, exec_lo
	v_cmpx_gt_i32_e64 s34, v4
	s_cbranch_execz .LBB12_238
; %bb.233:
	v_ashrrev_i32_e32 v5, 31, v4
	s_lshl_b64 s[20:21], s[26:27], 2
	v_mov_b32_e32 v2, 0
	s_add_u32 s10, s10, s20
	s_addc_u32 s11, s11, s21
	v_lshlrev_b64 v[0:1], 3, v[4:5]
	s_lshl_b64 s[20:21], s[36:37], 3
	s_delay_alu instid0(SALU_CYCLE_1) | instskip(SKIP_2) | instid1(VALU_DEP_1)
	s_add_u32 s0, s16, s20
	s_addc_u32 s3, s17, s21
	s_ashr_i32 s29, s28, 31
	v_add_co_u32 v0, vcc_lo, s0, v0
	v_add_co_ci_u32_e32 v1, vcc_lo, s3, v1, vcc_lo
	s_lshl_b64 s[16:17], s[28:29], 3
	s_mov_b32 s3, 0
	s_set_inst_prefetch_distance 0x1
	s_branch .LBB12_235
	.p2align	6
.LBB12_234:                             ;   in Loop: Header=BB12_235 Depth=1
	s_or_b32 exec_lo, exec_lo, s0
	v_add_nc_u32_e32 v4, s28, v4
	v_add_co_u32 v0, s0, v0, s16
	s_delay_alu instid0(VALU_DEP_1) | instskip(NEXT) | instid1(VALU_DEP_3)
	v_add_co_ci_u32_e64 v1, s0, s17, v1, s0
	v_cmp_le_i32_e32 vcc_lo, s34, v4
	s_or_b32 s3, vcc_lo, s3
	s_delay_alu instid0(SALU_CYCLE_1)
	s_and_not1_b32 exec_lo, exec_lo, s3
	s_cbranch_execz .LBB12_238
.LBB12_235:                             ; =>This Inner Loop Header: Depth=1
	global_load_b64 v[5:6], v[0:1], off
	s_mov_b32 s0, exec_lo
	s_waitcnt vmcnt(0)
	v_cmpx_neq_f64_e32 0, v[5:6]
	s_cbranch_execz .LBB12_234
; %bb.236:                              ;   in Loop: Header=BB12_235 Depth=1
	s_mov_b32 s6, exec_lo
	s_delay_alu instid0(SALU_CYCLE_1) | instskip(NEXT) | instid1(VALU_DEP_1)
	v_mbcnt_lo_u32_b32 v3, s6, 0
	v_cmp_eq_u32_e32 vcc_lo, 0, v3
	s_and_b32 s20, exec_lo, vcc_lo
	s_delay_alu instid0(SALU_CYCLE_1)
	s_mov_b32 exec_lo, s20
	s_cbranch_execz .LBB12_234
; %bb.237:                              ;   in Loop: Header=BB12_235 Depth=1
	s_bcnt1_i32_b32 s6, s6
	s_delay_alu instid0(SALU_CYCLE_1)
	v_mov_b32_e32 v3, s6
	global_atomic_add_u32 v2, v3, s[10:11]
	s_branch .LBB12_234
.LBB12_238:
	s_set_inst_prefetch_distance 0x2
	s_or_b32 exec_lo, exec_lo, s1
	s_cmp_lt_i32 s24, 2
	s_cbranch_scc1 .LBB12_251
; %bb.239:
	s_add_u32 s3, s14, -8
	s_addc_u32 s6, s15, -1
	s_add_u32 s0, s18, s12
	s_addc_u32 s1, s19, s13
	s_add_u32 s0, s0, 8
	s_addc_u32 s1, s1, 0
	s_lshl_b64 s[8:9], s[8:9], 3
	s_lshl_b64 s[10:11], s[30:31], 3
	v_mov_b32_e32 v6, 0
	s_add_u32 s8, s8, s10
	s_addc_u32 s9, s9, s11
	s_add_u32 s16, s4, s8
	s_addc_u32 s17, s5, s9
	s_mov_b32 s4, 1
	s_branch .LBB12_241
.LBB12_240:                             ;   in Loop: Header=BB12_241 Depth=1
	s_add_i32 s4, s4, 1
	s_add_u32 s0, s0, 8
	s_addc_u32 s1, s1, 0
	s_cmp_lg_u32 s4, s24
	s_waitcnt_vscnt null, 0x0
	s_barrier
	buffer_gl0_inv
	s_cbranch_scc0 .LBB12_251
.LBB12_241:                             ; =>This Loop Header: Depth=1
                                        ;     Child Loop BB12_244 Depth 2
                                        ;     Child Loop BB12_250 Depth 2
	s_and_saveexec_b32 s18, s2
	s_cbranch_execz .LBB12_248
; %bb.242:                              ;   in Loop: Header=BB12_241 Depth=1
	s_ashr_i32 s5, s4, 31
	s_mov_b64 s[12:13], s[0:1]
	s_lshl_b64 s[8:9], s[4:5], 3
	s_add_i32 s5, s4, -1
	s_add_u32 s8, s3, s8
	s_addc_u32 s9, s6, s9
	v_dual_mov_b32 v4, s5 :: v_dual_mov_b32 v5, s5
	global_load_b64 v[0:1], v6, s[8:9]
	s_mov_b32 s10, s5
	s_mov_b32 s11, s4
	s_waitcnt vmcnt(0)
	v_dual_mov_b32 v3, v1 :: v_dual_mov_b32 v2, v0
	ds_store_2addr_b64 v6, v[0:1], v[4:5] offset1:2
	s_branch .LBB12_244
	.p2align	6
.LBB12_243:                             ;   in Loop: Header=BB12_244 Depth=2
	s_add_i32 s11, s11, 1
	s_add_u32 s12, s12, 8
	s_addc_u32 s13, s13, 0
	s_cmp_ge_i32 s11, s24
	s_cbranch_scc1 .LBB12_246
.LBB12_244:                             ;   Parent Loop BB12_241 Depth=1
                                        ; =>  This Inner Loop Header: Depth=2
	global_load_b64 v[4:5], v6, s[12:13]
	s_waitcnt vmcnt(0)
	v_cmp_nlt_f64_e32 vcc_lo, v[4:5], v[2:3]
	s_cbranch_vccnz .LBB12_243
; %bb.245:                              ;   in Loop: Header=BB12_244 Depth=2
	v_dual_mov_b32 v7, s11 :: v_dual_mov_b32 v2, v4
	v_mov_b32_e32 v3, v5
	s_mov_b32 s10, s11
	ds_store_b32 v6, v7 offset:20
	ds_store_b64 v6, v[4:5]
	s_branch .LBB12_243
.LBB12_246:                             ;   in Loop: Header=BB12_241 Depth=1
	s_cmp_lg_u32 s10, s5
	s_cbranch_scc0 .LBB12_248
; %bb.247:                              ;   in Loop: Header=BB12_241 Depth=1
	s_ashr_i32 s11, s10, 31
	s_delay_alu instid0(SALU_CYCLE_1) | instskip(NEXT) | instid1(SALU_CYCLE_1)
	s_lshl_b64 s[10:11], s[10:11], 3
	s_add_u32 s10, s14, s10
	s_addc_u32 s11, s15, s11
	s_clause 0x1
	global_store_b64 v6, v[0:1], s[10:11]
	global_store_b64 v6, v[2:3], s[8:9]
.LBB12_248:                             ;   in Loop: Header=BB12_241 Depth=1
	s_or_b32 exec_lo, exec_lo, s18
	s_waitcnt lgkmcnt(0)
	s_waitcnt_vscnt null, 0x0
	s_barrier
	buffer_gl0_inv
	ds_load_b64 v[0:1], v6 offset:16
	s_waitcnt lgkmcnt(0)
	v_readfirstlane_b32 s5, v0
	v_readfirstlane_b32 s8, v1
	s_delay_alu instid0(VALU_DEP_1)
	s_cmp_eq_u32 s8, s5
	s_cbranch_scc1 .LBB12_240
; %bb.249:                              ;   in Loop: Header=BB12_241 Depth=1
	s_mul_i32 s8, s8, s7
	s_mul_i32 s10, s5, s7
	s_ashr_i32 s9, s8, 31
	s_mov_b32 s5, s24
	s_lshl_b64 s[8:9], s[8:9], 3
	s_delay_alu instid0(SALU_CYCLE_1) | instskip(SKIP_2) | instid1(SALU_CYCLE_1)
	s_add_u32 s8, s16, s8
	s_addc_u32 s9, s17, s9
	s_ashr_i32 s11, s10, 31
	s_lshl_b64 s[10:11], s[10:11], 3
	s_delay_alu instid0(SALU_CYCLE_1)
	s_add_u32 s10, s16, s10
	s_addc_u32 s11, s17, s11
.LBB12_250:                             ;   Parent Loop BB12_241 Depth=1
                                        ; =>  This Inner Loop Header: Depth=2
	s_clause 0x1
	global_load_b64 v[0:1], v6, s[8:9]
	global_load_b64 v[2:3], v6, s[10:11]
	s_add_i32 s5, s5, -1
	s_waitcnt vmcnt(1)
	global_store_b64 v6, v[0:1], s[10:11]
	s_waitcnt vmcnt(0)
	global_store_b64 v6, v[2:3], s[8:9]
	s_add_u32 s8, s8, 8
	s_addc_u32 s9, s9, 0
	s_add_u32 s10, s10, 8
	s_addc_u32 s11, s11, 0
	s_cmp_lg_u32 s5, 0
	s_cbranch_scc1 .LBB12_250
	s_branch .LBB12_240
.LBB12_251:
	s_nop 0
	s_sendmsg sendmsg(MSG_DEALLOC_VGPRS)
	s_endpgm
	.section	.rodata,"a",@progbits
	.p2align	6, 0x0
	.amdhsa_kernel _ZN9rocsolver6v33100L12steqr_kernelIddPdEEviPT0_lS4_lT1_iilPiS4_iS3_S3_S3_
		.amdhsa_group_segment_fixed_size 48
		.amdhsa_private_segment_fixed_size 0
		.amdhsa_kernarg_size 368
		.amdhsa_user_sgpr_count 14
		.amdhsa_user_sgpr_dispatch_ptr 0
		.amdhsa_user_sgpr_queue_ptr 0
		.amdhsa_user_sgpr_kernarg_segment_ptr 1
		.amdhsa_user_sgpr_dispatch_id 0
		.amdhsa_user_sgpr_private_segment_size 0
		.amdhsa_wavefront_size32 1
		.amdhsa_uses_dynamic_stack 0
		.amdhsa_enable_private_segment 0
		.amdhsa_system_sgpr_workgroup_id_x 1
		.amdhsa_system_sgpr_workgroup_id_y 1
		.amdhsa_system_sgpr_workgroup_id_z 0
		.amdhsa_system_sgpr_workgroup_info 0
		.amdhsa_system_vgpr_workitem_id 0
		.amdhsa_next_free_vgpr 68
		.amdhsa_next_free_sgpr 87
		.amdhsa_reserve_vcc 1
		.amdhsa_float_round_mode_32 0
		.amdhsa_float_round_mode_16_64 0
		.amdhsa_float_denorm_mode_32 3
		.amdhsa_float_denorm_mode_16_64 3
		.amdhsa_dx10_clamp 1
		.amdhsa_ieee_mode 1
		.amdhsa_fp16_overflow 0
		.amdhsa_workgroup_processor_mode 1
		.amdhsa_memory_ordered 1
		.amdhsa_forward_progress 0
		.amdhsa_shared_vgpr_count 0
		.amdhsa_exception_fp_ieee_invalid_op 0
		.amdhsa_exception_fp_denorm_src 0
		.amdhsa_exception_fp_ieee_div_zero 0
		.amdhsa_exception_fp_ieee_overflow 0
		.amdhsa_exception_fp_ieee_underflow 0
		.amdhsa_exception_fp_ieee_inexact 0
		.amdhsa_exception_int_div_zero 0
	.end_amdhsa_kernel
	.section	.text._ZN9rocsolver6v33100L12steqr_kernelIddPdEEviPT0_lS4_lT1_iilPiS4_iS3_S3_S3_,"axG",@progbits,_ZN9rocsolver6v33100L12steqr_kernelIddPdEEviPT0_lS4_lT1_iilPiS4_iS3_S3_S3_,comdat
.Lfunc_end12:
	.size	_ZN9rocsolver6v33100L12steqr_kernelIddPdEEviPT0_lS4_lT1_iilPiS4_iS3_S3_S3_, .Lfunc_end12-_ZN9rocsolver6v33100L12steqr_kernelIddPdEEviPT0_lS4_lT1_iilPiS4_iS3_S3_S3_
                                        ; -- End function
	.section	.AMDGPU.csdata,"",@progbits
; Kernel info:
; codeLenInByte = 17484
; NumSgprs: 89
; NumVgprs: 68
; ScratchSize: 0
; MemoryBound: 0
; FloatMode: 240
; IeeeMode: 1
; LDSByteSize: 48 bytes/workgroup (compile time only)
; SGPRBlocks: 11
; VGPRBlocks: 8
; NumSGPRsForWavesPerEU: 89
; NumVGPRsForWavesPerEU: 68
; Occupancy: 16
; WaveLimiterHint : 0
; COMPUTE_PGM_RSRC2:SCRATCH_EN: 0
; COMPUTE_PGM_RSRC2:USER_SGPR: 14
; COMPUTE_PGM_RSRC2:TRAP_HANDLER: 0
; COMPUTE_PGM_RSRC2:TGID_X_EN: 1
; COMPUTE_PGM_RSRC2:TGID_Y_EN: 1
; COMPUTE_PGM_RSRC2:TGID_Z_EN: 0
; COMPUTE_PGM_RSRC2:TIDIG_COMP_CNT: 0
	.section	.text._ZN9rocsolver6v33100L16reset_batch_infoI19rocblas_complex_numIfEiiPS3_EEvT2_lT0_T1_,"axG",@progbits,_ZN9rocsolver6v33100L16reset_batch_infoI19rocblas_complex_numIfEiiPS3_EEvT2_lT0_T1_,comdat
	.globl	_ZN9rocsolver6v33100L16reset_batch_infoI19rocblas_complex_numIfEiiPS3_EEvT2_lT0_T1_ ; -- Begin function _ZN9rocsolver6v33100L16reset_batch_infoI19rocblas_complex_numIfEiiPS3_EEvT2_lT0_T1_
	.p2align	8
	.type	_ZN9rocsolver6v33100L16reset_batch_infoI19rocblas_complex_numIfEiiPS3_EEvT2_lT0_T1_,@function
_ZN9rocsolver6v33100L16reset_batch_infoI19rocblas_complex_numIfEiiPS3_EEvT2_lT0_T1_: ; @_ZN9rocsolver6v33100L16reset_batch_infoI19rocblas_complex_numIfEiiPS3_EEvT2_lT0_T1_
; %bb.0:
	s_clause 0x1
	s_load_b32 s4, s[0:1], 0x24
	s_load_b64 s[2:3], s[0:1], 0x10
	s_waitcnt lgkmcnt(0)
	s_and_b32 s4, s4, 0xffff
	s_delay_alu instid0(SALU_CYCLE_1) | instskip(NEXT) | instid1(VALU_DEP_1)
	v_mad_u64_u32 v[1:2], null, s14, s4, v[0:1]
	v_cmp_gt_i32_e32 vcc_lo, s2, v1
	s_and_saveexec_b32 s2, vcc_lo
	s_cbranch_execz .LBB13_2
; %bb.1:
	s_load_b128 s[4:7], s[0:1], 0x0
	v_ashrrev_i32_e32 v2, 31, v1
	s_ashr_i32 s0, s15, 31
	v_mov_b32_e32 v3, 0
	s_delay_alu instid0(VALU_DEP_2)
	v_lshlrev_b64 v[0:1], 3, v[1:2]
	v_cvt_f32_i32_e32 v2, s3
	s_waitcnt lgkmcnt(0)
	s_mul_i32 s1, s15, s7
	s_mul_hi_u32 s2, s15, s6
	s_mul_i32 s7, s0, s6
	s_add_i32 s1, s2, s1
	s_mul_i32 s0, s15, s6
	s_add_i32 s1, s1, s7
	s_delay_alu instid0(SALU_CYCLE_1) | instskip(NEXT) | instid1(SALU_CYCLE_1)
	s_lshl_b64 s[0:1], s[0:1], 3
	s_add_u32 s0, s4, s0
	s_addc_u32 s1, s5, s1
	v_add_co_u32 v0, vcc_lo, s0, v0
	v_add_co_ci_u32_e32 v1, vcc_lo, s1, v1, vcc_lo
	global_store_b64 v[0:1], v[2:3], off
.LBB13_2:
	s_nop 0
	s_sendmsg sendmsg(MSG_DEALLOC_VGPRS)
	s_endpgm
	.section	.rodata,"a",@progbits
	.p2align	6, 0x0
	.amdhsa_kernel _ZN9rocsolver6v33100L16reset_batch_infoI19rocblas_complex_numIfEiiPS3_EEvT2_lT0_T1_
		.amdhsa_group_segment_fixed_size 0
		.amdhsa_private_segment_fixed_size 0
		.amdhsa_kernarg_size 280
		.amdhsa_user_sgpr_count 14
		.amdhsa_user_sgpr_dispatch_ptr 0
		.amdhsa_user_sgpr_queue_ptr 0
		.amdhsa_user_sgpr_kernarg_segment_ptr 1
		.amdhsa_user_sgpr_dispatch_id 0
		.amdhsa_user_sgpr_private_segment_size 0
		.amdhsa_wavefront_size32 1
		.amdhsa_uses_dynamic_stack 0
		.amdhsa_enable_private_segment 0
		.amdhsa_system_sgpr_workgroup_id_x 1
		.amdhsa_system_sgpr_workgroup_id_y 1
		.amdhsa_system_sgpr_workgroup_id_z 0
		.amdhsa_system_sgpr_workgroup_info 0
		.amdhsa_system_vgpr_workitem_id 0
		.amdhsa_next_free_vgpr 4
		.amdhsa_next_free_sgpr 16
		.amdhsa_reserve_vcc 1
		.amdhsa_float_round_mode_32 0
		.amdhsa_float_round_mode_16_64 0
		.amdhsa_float_denorm_mode_32 3
		.amdhsa_float_denorm_mode_16_64 3
		.amdhsa_dx10_clamp 1
		.amdhsa_ieee_mode 1
		.amdhsa_fp16_overflow 0
		.amdhsa_workgroup_processor_mode 1
		.amdhsa_memory_ordered 1
		.amdhsa_forward_progress 0
		.amdhsa_shared_vgpr_count 0
		.amdhsa_exception_fp_ieee_invalid_op 0
		.amdhsa_exception_fp_denorm_src 0
		.amdhsa_exception_fp_ieee_div_zero 0
		.amdhsa_exception_fp_ieee_overflow 0
		.amdhsa_exception_fp_ieee_underflow 0
		.amdhsa_exception_fp_ieee_inexact 0
		.amdhsa_exception_int_div_zero 0
	.end_amdhsa_kernel
	.section	.text._ZN9rocsolver6v33100L16reset_batch_infoI19rocblas_complex_numIfEiiPS3_EEvT2_lT0_T1_,"axG",@progbits,_ZN9rocsolver6v33100L16reset_batch_infoI19rocblas_complex_numIfEiiPS3_EEvT2_lT0_T1_,comdat
.Lfunc_end13:
	.size	_ZN9rocsolver6v33100L16reset_batch_infoI19rocblas_complex_numIfEiiPS3_EEvT2_lT0_T1_, .Lfunc_end13-_ZN9rocsolver6v33100L16reset_batch_infoI19rocblas_complex_numIfEiiPS3_EEvT2_lT0_T1_
                                        ; -- End function
	.section	.AMDGPU.csdata,"",@progbits
; Kernel info:
; codeLenInByte = 168
; NumSgprs: 18
; NumVgprs: 4
; ScratchSize: 0
; MemoryBound: 0
; FloatMode: 240
; IeeeMode: 1
; LDSByteSize: 0 bytes/workgroup (compile time only)
; SGPRBlocks: 2
; VGPRBlocks: 0
; NumSGPRsForWavesPerEU: 18
; NumVGPRsForWavesPerEU: 4
; Occupancy: 16
; WaveLimiterHint : 0
; COMPUTE_PGM_RSRC2:SCRATCH_EN: 0
; COMPUTE_PGM_RSRC2:USER_SGPR: 14
; COMPUTE_PGM_RSRC2:TRAP_HANDLER: 0
; COMPUTE_PGM_RSRC2:TGID_X_EN: 1
; COMPUTE_PGM_RSRC2:TGID_Y_EN: 1
; COMPUTE_PGM_RSRC2:TGID_Z_EN: 0
; COMPUTE_PGM_RSRC2:TIDIG_COMP_CNT: 0
	.section	.text._ZN9rocsolver6v33100L10init_identI19rocblas_complex_numIfEPS3_EEviiT0_iil,"axG",@progbits,_ZN9rocsolver6v33100L10init_identI19rocblas_complex_numIfEPS3_EEviiT0_iil,comdat
	.globl	_ZN9rocsolver6v33100L10init_identI19rocblas_complex_numIfEPS3_EEviiT0_iil ; -- Begin function _ZN9rocsolver6v33100L10init_identI19rocblas_complex_numIfEPS3_EEviiT0_iil
	.p2align	8
	.type	_ZN9rocsolver6v33100L10init_identI19rocblas_complex_numIfEPS3_EEviiT0_iil,@function
_ZN9rocsolver6v33100L10init_identI19rocblas_complex_numIfEPS3_EEviiT0_iil: ; @_ZN9rocsolver6v33100L10init_identI19rocblas_complex_numIfEPS3_EEviiT0_iil
; %bb.0:
	s_clause 0x1
	s_load_b32 s4, s[0:1], 0x2c
	s_load_b64 s[2:3], s[0:1], 0x0
	v_and_b32_e32 v1, 0x3ff, v0
	v_bfe_u32 v0, v0, 10, 10
	s_waitcnt lgkmcnt(0)
	s_lshr_b32 s5, s4, 16
	s_and_b32 s4, s4, 0xffff
	s_delay_alu instid0(SALU_CYCLE_1) | instskip(SKIP_1) | instid1(VALU_DEP_2)
	v_mad_u64_u32 v[3:4], null, s13, s4, v[1:2]
	v_mad_u64_u32 v[4:5], null, s14, s5, v[0:1]
	v_cmp_gt_u32_e32 vcc_lo, s2, v3
	s_delay_alu instid0(VALU_DEP_2) | instskip(NEXT) | instid1(VALU_DEP_1)
	v_cmp_gt_u32_e64 s2, s3, v4
	s_and_b32 s2, vcc_lo, s2
	s_delay_alu instid0(SALU_CYCLE_1)
	s_and_saveexec_b32 s3, s2
	s_cbranch_execz .LBB14_6
; %bb.1:
	s_load_b64 s[2:3], s[0:1], 0x10
	s_mov_b32 s4, exec_lo
                                        ; implicit-def: $sgpr5
                                        ; implicit-def: $vgpr0
	v_cmpx_ne_u32_e64 v3, v4
	s_xor_b32 s4, exec_lo, s4
	s_cbranch_execz .LBB14_3
; %bb.2:
	s_waitcnt lgkmcnt(0)
	v_mad_u64_u32 v[0:1], null, v4, s3, v[3:4]
	s_mov_b32 s5, 0
                                        ; implicit-def: $vgpr3_vgpr4
.LBB14_3:
	s_or_saveexec_b32 s4, s4
	v_mov_b32_e32 v2, s5
	s_xor_b32 exec_lo, exec_lo, s4
	s_cbranch_execz .LBB14_5
; %bb.4:
	s_waitcnt lgkmcnt(0)
	v_mad_u64_u32 v[0:1], null, v3, s3, v[3:4]
	v_mov_b32_e32 v2, 1.0
.LBB14_5:
	s_or_b32 exec_lo, exec_lo, s4
	s_clause 0x1
	s_load_b64 s[4:5], s[0:1], 0x18
	s_load_b64 s[0:1], s[0:1], 0x8
	v_mov_b32_e32 v1, 0
	s_delay_alu instid0(VALU_DEP_1)
	v_lshlrev_b64 v[3:4], 3, v[0:1]
	s_waitcnt lgkmcnt(0)
	s_mul_i32 s3, s15, s5
	s_mul_hi_u32 s5, s15, s4
	s_mul_i32 s4, s15, s4
	s_add_i32 s5, s5, s3
	s_ashr_i32 s3, s2, 31
	s_lshl_b64 s[4:5], s[4:5], 3
	s_delay_alu instid0(SALU_CYCLE_1) | instskip(SKIP_2) | instid1(SALU_CYCLE_1)
	s_add_u32 s4, s0, s4
	s_addc_u32 s5, s1, s5
	s_lshl_b64 s[0:1], s[2:3], 3
	s_add_u32 s0, s4, s0
	s_addc_u32 s1, s5, s1
	v_add_co_u32 v5, vcc_lo, s0, v3
	v_add_co_ci_u32_e32 v6, vcc_lo, s1, v4, vcc_lo
	v_mov_b32_e32 v3, v1
	global_store_b64 v[5:6], v[2:3], off
.LBB14_6:
	s_nop 0
	s_sendmsg sendmsg(MSG_DEALLOC_VGPRS)
	s_endpgm
	.section	.rodata,"a",@progbits
	.p2align	6, 0x0
	.amdhsa_kernel _ZN9rocsolver6v33100L10init_identI19rocblas_complex_numIfEPS3_EEviiT0_iil
		.amdhsa_group_segment_fixed_size 0
		.amdhsa_private_segment_fixed_size 0
		.amdhsa_kernarg_size 288
		.amdhsa_user_sgpr_count 13
		.amdhsa_user_sgpr_dispatch_ptr 0
		.amdhsa_user_sgpr_queue_ptr 0
		.amdhsa_user_sgpr_kernarg_segment_ptr 1
		.amdhsa_user_sgpr_dispatch_id 0
		.amdhsa_user_sgpr_private_segment_size 0
		.amdhsa_wavefront_size32 1
		.amdhsa_uses_dynamic_stack 0
		.amdhsa_enable_private_segment 0
		.amdhsa_system_sgpr_workgroup_id_x 1
		.amdhsa_system_sgpr_workgroup_id_y 1
		.amdhsa_system_sgpr_workgroup_id_z 1
		.amdhsa_system_sgpr_workgroup_info 0
		.amdhsa_system_vgpr_workitem_id 1
		.amdhsa_next_free_vgpr 7
		.amdhsa_next_free_sgpr 16
		.amdhsa_reserve_vcc 1
		.amdhsa_float_round_mode_32 0
		.amdhsa_float_round_mode_16_64 0
		.amdhsa_float_denorm_mode_32 3
		.amdhsa_float_denorm_mode_16_64 3
		.amdhsa_dx10_clamp 1
		.amdhsa_ieee_mode 1
		.amdhsa_fp16_overflow 0
		.amdhsa_workgroup_processor_mode 1
		.amdhsa_memory_ordered 1
		.amdhsa_forward_progress 0
		.amdhsa_shared_vgpr_count 0
		.amdhsa_exception_fp_ieee_invalid_op 0
		.amdhsa_exception_fp_denorm_src 0
		.amdhsa_exception_fp_ieee_div_zero 0
		.amdhsa_exception_fp_ieee_overflow 0
		.amdhsa_exception_fp_ieee_underflow 0
		.amdhsa_exception_fp_ieee_inexact 0
		.amdhsa_exception_int_div_zero 0
	.end_amdhsa_kernel
	.section	.text._ZN9rocsolver6v33100L10init_identI19rocblas_complex_numIfEPS3_EEviiT0_iil,"axG",@progbits,_ZN9rocsolver6v33100L10init_identI19rocblas_complex_numIfEPS3_EEviiT0_iil,comdat
.Lfunc_end14:
	.size	_ZN9rocsolver6v33100L10init_identI19rocblas_complex_numIfEPS3_EEviiT0_iil, .Lfunc_end14-_ZN9rocsolver6v33100L10init_identI19rocblas_complex_numIfEPS3_EEviiT0_iil
                                        ; -- End function
	.section	.AMDGPU.csdata,"",@progbits
; Kernel info:
; codeLenInByte = 308
; NumSgprs: 18
; NumVgprs: 7
; ScratchSize: 0
; MemoryBound: 0
; FloatMode: 240
; IeeeMode: 1
; LDSByteSize: 0 bytes/workgroup (compile time only)
; SGPRBlocks: 2
; VGPRBlocks: 0
; NumSGPRsForWavesPerEU: 18
; NumVGPRsForWavesPerEU: 7
; Occupancy: 16
; WaveLimiterHint : 0
; COMPUTE_PGM_RSRC2:SCRATCH_EN: 0
; COMPUTE_PGM_RSRC2:USER_SGPR: 13
; COMPUTE_PGM_RSRC2:TRAP_HANDLER: 0
; COMPUTE_PGM_RSRC2:TGID_X_EN: 1
; COMPUTE_PGM_RSRC2:TGID_Y_EN: 1
; COMPUTE_PGM_RSRC2:TGID_Z_EN: 1
; COMPUTE_PGM_RSRC2:TIDIG_COMP_CNT: 1
	.section	.text._ZN9rocsolver6v33100L11lasr_kernelI19rocblas_complex_numIfEfPS3_iEEv13rocblas_side_14rocblas_pivot_15rocblas_direct_T2_S8_PT0_lSA_lT1_lS8_lS8_,"axG",@progbits,_ZN9rocsolver6v33100L11lasr_kernelI19rocblas_complex_numIfEfPS3_iEEv13rocblas_side_14rocblas_pivot_15rocblas_direct_T2_S8_PT0_lSA_lT1_lS8_lS8_,comdat
	.globl	_ZN9rocsolver6v33100L11lasr_kernelI19rocblas_complex_numIfEfPS3_iEEv13rocblas_side_14rocblas_pivot_15rocblas_direct_T2_S8_PT0_lSA_lT1_lS8_lS8_ ; -- Begin function _ZN9rocsolver6v33100L11lasr_kernelI19rocblas_complex_numIfEfPS3_iEEv13rocblas_side_14rocblas_pivot_15rocblas_direct_T2_S8_PT0_lSA_lT1_lS8_lS8_
	.p2align	8
	.type	_ZN9rocsolver6v33100L11lasr_kernelI19rocblas_complex_numIfEfPS3_iEEv13rocblas_side_14rocblas_pivot_15rocblas_direct_T2_S8_PT0_lSA_lT1_lS8_lS8_,@function
_ZN9rocsolver6v33100L11lasr_kernelI19rocblas_complex_numIfEfPS3_iEEv13rocblas_side_14rocblas_pivot_15rocblas_direct_T2_S8_PT0_lSA_lT1_lS8_lS8_: ; @_ZN9rocsolver6v33100L11lasr_kernelI19rocblas_complex_numIfEfPS3_iEEv13rocblas_side_14rocblas_pivot_15rocblas_direct_T2_S8_PT0_lSA_lT1_lS8_lS8_
; %bb.0:
	s_load_b32 s33, s[0:1], 0x58
	s_waitcnt lgkmcnt(0)
	s_cmp_ge_u32 s15, s33
	s_cbranch_scc1 .LBB15_98
; %bb.1:
	s_clause 0x5
	s_load_b32 s12, s[0:1], 0x48
	s_load_b128 s[20:23], s[0:1], 0x38
	s_load_b64 s[24:25], s[0:1], 0x68
	s_load_b128 s[16:19], s[0:1], 0x0
	s_load_b32 s52, s[0:1], 0x10
	s_load_b32 s28, s[0:1], 0x60
	s_mov_b32 s43, 0
	v_mov_b32_e32 v36, 0
	s_mov_b32 s45, s43
	s_waitcnt lgkmcnt(0)
	s_ashr_i32 s13, s12, 31
	s_lshl_b64 s[2:3], s[22:23], 3
	s_and_b32 s26, s25, 0xffff
	s_add_u32 s25, s20, s2
	s_addc_u32 s53, s21, s3
	s_cmpk_lg_i32 s16, 0x8d
	v_mad_u64_u32 v[1:2], null, s14, s26, v[0:1]
	s_cselect_b32 s27, -1, 0
	s_cmpk_lg_i32 s16, 0x8e
	s_mov_b32 s22, s19
	s_cselect_b32 s30, -1, 0
	s_cmpk_lg_i32 s17, 0x119
	s_cselect_b32 s29, -1, 0
	s_cmpk_lg_i32 s17, 0x11b
	v_mad_i64_i32 v[2:3], null, s12, v1, 0
	s_cselect_b32 s31, -1, 0
	s_cmpk_lg_i32 s17, 0x11a
	s_load_b64 s[16:17], s[0:1], 0x50
	s_cselect_b32 s34, -1, 0
	s_cmpk_lg_i32 s18, 0xab
	s_mul_i32 s26, s28, s26
	s_cselect_b32 s35, -1, 0
	s_or_b32 s36, s27, s29
	s_ashr_i32 s23, s19, 31
	s_or_b32 s4, s36, s35
	s_add_i32 s42, s19, -2
	s_xor_b32 s14, s4, -1
	s_cmpk_lg_i32 s18, 0xac
	s_load_b256 s[4:11], s[0:1], 0x18
	s_cselect_b32 s37, -1, 0
	v_cmp_le_i32_e32 vcc_lo, s19, v1
	s_or_b32 s0, s36, s37
	v_lshlrev_b64 v[2:3], 3, v[2:3]
	s_xor_b32 s18, s0, -1
	s_cmp_gt_i32 s19, 1
	v_cmp_gt_i32_e64 s0, s52, v1
	s_cselect_b32 s54, -1, 0
	s_or_b32 s1, s27, s34
	s_or_b32 s27, s27, s31
	;; [unrolled: 1-line block ×9, first 2 shown]
	s_xor_b32 s55, s29, -1
	s_xor_b32 s56, s1, -1
	;; [unrolled: 1-line block ×5, first 2 shown]
	s_add_i32 s60, s52, -1
	s_xor_b32 s61, s28, -1
	s_add_i32 s44, s52, -2
	s_cmp_gt_i32 s52, 1
	s_mul_i32 s36, s12, s26
	s_cselect_b32 s62, -1, 0
	s_or_b32 s27, s30, s34
	s_or_b32 s30, s30, s31
	;; [unrolled: 1-line block ×4, first 2 shown]
	s_or_b32 s31, s37, vcc_lo
	s_xor_b32 s64, s27, -1
	s_or_b32 s27, s30, s35
	v_add_co_u32 v4, vcc_lo, s25, v2
	s_xor_b32 s65, s27, -1
	s_or_b32 s27, s30, s31
	s_mul_hi_i32 s37, s12, s26
	s_lshl_b64 s[38:39], s[42:43], 2
	s_xor_b32 s63, s34, -1
	s_xor_b32 s66, s27, -1
	s_add_i32 s30, s19, -1
	s_waitcnt lgkmcnt(0)
	s_lshl_b64 s[10:11], s[10:11], 2
	s_lshl_b64 s[6:7], s[6:7], 2
	v_add_co_ci_u32_e32 v3, vcc_lo, s53, v3, vcc_lo
	s_lshl_b64 s[34:35], s[16:17], 3
	s_ashr_i32 s27, s26, 31
	s_lshl_b64 s[36:37], s[36:37], 3
	s_add_u32 s67, s4, s38
	s_addc_u32 s68, s5, s39
	v_add_co_u32 v0, vcc_lo, v4, 12
	s_add_u32 s69, s8, s38
	s_addc_u32 s70, s9, s39
	s_lshl_b64 s[38:39], s[42:43], 3
	v_add_co_ci_u32_e32 v15, vcc_lo, 0, v3, vcc_lo
	v_add_co_u32 v16, vcc_lo, v4, s38
	v_add_co_ci_u32_e32 v17, vcc_lo, s39, v3, vcc_lo
	v_add_co_u32 v18, vcc_lo, v4, 8
	v_add_co_ci_u32_e32 v19, vcc_lo, 0, v3, vcc_lo
	v_ashrrev_i32_e32 v2, 31, v1
	v_add_co_u32 v20, vcc_lo, v4, 4
	s_mov_b32 s31, s43
	v_add_co_ci_u32_e32 v21, vcc_lo, 0, v3, vcc_lo
	s_lshl_b64 s[38:39], s[30:31], 3
	v_lshlrev_b64 v[2:3], 3, v[1:2]
	v_add_co_u32 v22, vcc_lo, v20, s38
	s_mul_i32 s31, s13, s44
	s_mul_hi_u32 s38, s12, s44
	v_add_co_ci_u32_e32 v23, vcc_lo, s39, v21, vcc_lo
	s_add_i32 s41, s38, s31
	s_mul_i32 s40, s12, s44
	v_add_co_u32 v24, vcc_lo, v16, 4
	s_lshl_b64 s[46:47], s[40:41], 3
	s_add_i32 s71, s19, 1
	v_add_co_ci_u32_e32 v25, vcc_lo, 0, v17, vcc_lo
	s_lshl_b64 s[38:39], s[26:27], 3
	s_lshl_b64 s[40:41], s[12:13], 3
	v_add_co_u32 v4, vcc_lo, s25, v2
	s_add_u32 s27, s46, s2
	s_mul_i32 s28, s12, s60
	s_addc_u32 s31, s47, s3
	s_mul_i32 s13, s13, s60
	s_mul_hi_u32 s42, s12, s60
	v_add_co_ci_u32_e32 v5, vcc_lo, s53, v3, vcc_lo
	s_add_u32 s27, s20, s27
	s_addc_u32 s31, s21, s31
	s_add_i32 s47, s42, s13
	s_mov_b32 s46, s28
	v_add_co_u32 v26, vcc_lo, v4, 4
	s_lshl_b64 s[42:43], s[46:47], 3
	v_add_co_ci_u32_e32 v27, vcc_lo, 0, v5, vcc_lo
	s_add_u32 s13, s42, s2
	v_add_co_u32 v28, vcc_lo, s27, v2
	s_addc_u32 s27, s43, s3
	s_add_u32 s13, s20, s13
	v_add_co_ci_u32_e32 v29, vcc_lo, s31, v3, vcc_lo
	s_addc_u32 s27, s21, s27
	s_lshl_b64 s[42:43], s[44:45], 2
	v_add_co_u32 v4, vcc_lo, s13, v2
	s_add_u32 s13, s4, s42
	v_add_co_ci_u32_e32 v5, vcc_lo, s27, v3, vcc_lo
	s_addc_u32 s27, s5, s43
	s_add_u32 s31, s8, s42
	s_addc_u32 s72, s9, s43
	s_add_u32 s2, s2, s40
	;; [unrolled: 2-line block ×3, first 2 shown]
	s_addc_u32 s3, s21, s3
	v_add_co_u32 v2, vcc_lo, s2, v2
	v_add_co_ci_u32_e32 v3, vcc_lo, s3, v3, vcc_lo
	v_add_co_u32 v30, vcc_lo, v4, 4
	v_add_co_ci_u32_e32 v31, vcc_lo, 0, v5, vcc_lo
	s_delay_alu instid0(VALU_DEP_4) | instskip(NEXT) | instid1(VALU_DEP_4)
	v_add_co_u32 v32, vcc_lo, v2, 4
	v_add_co_ci_u32_e32 v33, vcc_lo, 0, v3, vcc_lo
	v_add_co_u32 v34, vcc_lo, v28, 4
	v_cmp_gt_i32_e64 s1, s19, v1
	v_add_co_ci_u32_e32 v35, vcc_lo, 0, v29, vcc_lo
	s_add_i32 s73, s52, 1
	s_sub_u32 s74, 0, s40
	s_mul_hi_i32 s29, s12, s60
	s_subb_u32 s75, 0, s41
	s_branch .LBB15_4
.LBB15_2:                               ;   in Loop: Header=BB15_4 Depth=1
	s_or_b32 exec_lo, exec_lo, s42
.LBB15_3:                               ;   in Loop: Header=BB15_4 Depth=1
	s_add_i32 s15, s15, s24
	s_delay_alu instid0(SALU_CYCLE_1)
	s_cmp_ge_u32 s15, s33
	s_cbranch_scc1 .LBB15_98
.LBB15_4:                               ; =>This Loop Header: Depth=1
                                        ;     Child Loop BB15_8 Depth 2
                                        ;       Child Loop BB15_9 Depth 3
                                        ;     Child Loop BB15_16 Depth 2
                                        ;       Child Loop BB15_17 Depth 3
	;; [unrolled: 2-line block ×12, first 2 shown]
	s_mul_i32 s2, s7, s15
	s_mul_hi_u32 s3, s6, s15
	s_mul_hi_u32 s76, s34, s15
	s_add_i32 s50, s3, s2
	s_mul_i32 s2, s11, s15
	s_mul_hi_u32 s3, s10, s15
	s_mul_i32 s80, s6, s15
	s_add_i32 s51, s3, s2
	s_mul_i32 s2, s35, s15
	s_mul_i32 s81, s10, s15
	s_add_i32 s76, s76, s2
	s_add_u32 s20, s4, s80
	s_addc_u32 s21, s5, s50
	s_mul_i32 s2, s15, s17
	s_mul_hi_u32 s3, s15, s16
	s_add_u32 s42, s8, s81
	s_addc_u32 s43, s9, s51
	s_add_i32 s3, s3, s2
	s_mul_i32 s2, s15, s16
	s_mul_i32 s79, s34, s15
	s_lshl_b64 s[2:3], s[2:3], 3
	s_delay_alu instid0(SALU_CYCLE_1)
	s_add_u32 s77, s25, s2
	s_addc_u32 s78, s53, s3
	s_and_not1_b32 vcc_lo, exec_lo, s14
	s_mov_b32 s2, -1
	s_cbranch_vccnz .LBB15_11
; %bb.5:                                ;   in Loop: Header=BB15_4 Depth=1
	s_and_saveexec_b32 s46, s0
	s_cbranch_execz .LBB15_10
; %bb.6:                                ;   in Loop: Header=BB15_4 Depth=1
	v_add_co_u32 v2, vcc_lo, v0, s79
	v_add_co_ci_u32_e32 v3, vcc_lo, s76, v15, vcc_lo
	s_lshl_b64 s[2:3], s[22:23], 3
	v_mov_b32_e32 v10, v1
	s_add_u32 s47, s77, s2
	s_addc_u32 s48, s78, s3
	s_mov_b32 s49, 0
	s_branch .LBB15_8
.LBB15_7:                               ;   in Loop: Header=BB15_8 Depth=2
	v_add_nc_u32_e32 v10, s26, v10
	v_add_co_u32 v4, vcc_lo, s47, v4
	v_add_co_ci_u32_e32 v5, vcc_lo, s48, v5, vcc_lo
	s_delay_alu instid0(VALU_DEP_3) | instskip(SKIP_1) | instid1(VALU_DEP_1)
	v_cmp_le_i32_e32 vcc_lo, s52, v10
	v_add_co_u32 v2, s2, v2, s36
	v_add_co_ci_u32_e64 v3, s2, s37, v3, s2
	s_or_b32 s49, vcc_lo, s49
	s_waitcnt vmcnt(0)
	global_store_b64 v[4:5], v[6:7], off offset:-8
	s_and_not1_b32 exec_lo, exec_lo, s49
	s_cbranch_execz .LBB15_10
.LBB15_8:                               ;   Parent Loop BB15_4 Depth=1
                                        ; =>  This Loop Header: Depth=2
                                        ;       Child Loop BB15_9 Depth 3
	v_mad_i64_i32 v[4:5], null, v10, s12, 0
	v_dual_mov_b32 v9, v3 :: v_dual_mov_b32 v8, v2
	s_mov_b64 s[2:3], s[20:21]
	s_mov_b64 s[44:45], s[42:43]
	s_mov_b32 s82, s30
	s_delay_alu instid0(VALU_DEP_2) | instskip(NEXT) | instid1(VALU_DEP_1)
	v_lshlrev_b64 v[4:5], 3, v[4:5]
	v_add_co_u32 v6, vcc_lo, s77, v4
	s_delay_alu instid0(VALU_DEP_2)
	v_add_co_ci_u32_e32 v7, vcc_lo, s78, v5, vcc_lo
	s_and_not1_b32 vcc_lo, exec_lo, s54
	global_load_b64 v[6:7], v[6:7], off
	s_cbranch_vccnz .LBB15_7
	.p2align	6
.LBB15_9:                               ;   Parent Loop BB15_4 Depth=1
                                        ;     Parent Loop BB15_8 Depth=2
                                        ; =>    This Inner Loop Header: Depth=3
	global_load_b32 v37, v36, s[44:45]
	global_load_b64 v[11:12], v[8:9], off offset:-4
	global_load_b32 v38, v36, s[2:3]
	s_add_i32 s82, s82, -1
	s_add_u32 s44, s44, 4
	s_addc_u32 s45, s45, 0
	s_add_u32 s2, s2, 4
	s_addc_u32 s3, s3, 0
	s_cmp_eq_u32 s82, 0
	s_waitcnt vmcnt(1)
	v_dual_mul_f32 v39, v6, v37 :: v_dual_mul_f32 v14, v37, v12
	v_mul_f32_e32 v13, v37, v11
	v_mul_f32_e32 v37, v7, v37
	s_waitcnt vmcnt(0)
	s_delay_alu instid0(VALU_DEP_3) | instskip(NEXT) | instid1(VALU_DEP_3)
	v_fmac_f32_e32 v14, v7, v38
	v_fmac_f32_e32 v13, v6, v38
	v_fma_f32 v6, v38, v11, -v39
	v_fma_f32 v7, v38, v12, -v37
	global_store_b64 v[8:9], v[13:14], off offset:-12
	v_add_co_u32 v8, vcc_lo, v8, 8
	v_add_co_ci_u32_e32 v9, vcc_lo, 0, v9, vcc_lo
	s_cbranch_scc0 .LBB15_9
	s_branch .LBB15_7
.LBB15_10:                              ;   in Loop: Header=BB15_4 Depth=1
	s_or_b32 exec_lo, exec_lo, s46
	s_mov_b32 s2, 0
.LBB15_11:                              ;   in Loop: Header=BB15_4 Depth=1
	s_delay_alu instid0(SALU_CYCLE_1)
	s_and_not1_b32 vcc_lo, exec_lo, s2
	s_cbranch_vccnz .LBB15_3
; %bb.12:                               ;   in Loop: Header=BB15_4 Depth=1
	s_add_u32 s44, s67, s80
	s_addc_u32 s45, s68, s50
	s_add_u32 s46, s69, s81
	s_addc_u32 s47, s70, s51
	s_and_not1_b32 vcc_lo, exec_lo, s18
	s_mov_b32 s2, -1
	s_cbranch_vccnz .LBB15_19
; %bb.13:                               ;   in Loop: Header=BB15_4 Depth=1
	s_and_saveexec_b32 s82, s0
	s_cbranch_execz .LBB15_18
; %bb.14:                               ;   in Loop: Header=BB15_4 Depth=1
	v_add_co_u32 v2, vcc_lo, v16, s79
	v_add_co_ci_u32_e32 v3, vcc_lo, s76, v17, vcc_lo
	s_lshl_b64 s[2:3], s[22:23], 3
	v_mov_b32_e32 v10, v1
	s_add_u32 s83, s77, s2
	s_addc_u32 s84, s78, s3
	s_mov_b32 s85, 0
	s_branch .LBB15_16
.LBB15_15:                              ;   in Loop: Header=BB15_16 Depth=2
	v_add_nc_u32_e32 v10, s26, v10
	v_add_co_u32 v4, vcc_lo, s77, v4
	v_add_co_ci_u32_e32 v5, vcc_lo, s78, v5, vcc_lo
	s_delay_alu instid0(VALU_DEP_3) | instskip(SKIP_1) | instid1(VALU_DEP_1)
	v_cmp_le_i32_e32 vcc_lo, s52, v10
	v_add_co_u32 v2, s2, v2, s36
	v_add_co_ci_u32_e64 v3, s2, s37, v3, s2
	s_or_b32 s85, vcc_lo, s85
	s_waitcnt vmcnt(0)
	global_store_b64 v[4:5], v[6:7], off
	s_and_not1_b32 exec_lo, exec_lo, s85
	s_cbranch_execz .LBB15_18
.LBB15_16:                              ;   Parent Loop BB15_4 Depth=1
                                        ; =>  This Loop Header: Depth=2
                                        ;       Child Loop BB15_17 Depth 3
	v_mad_i64_i32 v[4:5], null, v10, s12, 0
	v_dual_mov_b32 v9, v3 :: v_dual_mov_b32 v8, v2
	s_mov_b64 s[2:3], s[46:47]
	s_mov_b64 s[48:49], s[44:45]
	s_mov_b32 s86, s30
	s_delay_alu instid0(VALU_DEP_2) | instskip(NEXT) | instid1(VALU_DEP_1)
	v_lshlrev_b64 v[4:5], 3, v[4:5]
	v_add_co_u32 v6, vcc_lo, s83, v4
	s_delay_alu instid0(VALU_DEP_2)
	v_add_co_ci_u32_e32 v7, vcc_lo, s84, v5, vcc_lo
	s_and_not1_b32 vcc_lo, exec_lo, s54
	global_load_b64 v[6:7], v[6:7], off offset:-8
	s_cbranch_vccnz .LBB15_15
	.p2align	6
.LBB15_17:                              ;   Parent Loop BB15_4 Depth=1
                                        ;     Parent Loop BB15_16 Depth=2
                                        ; =>    This Inner Loop Header: Depth=3
	global_load_b32 v13, v36, s[2:3]
	global_load_b64 v[11:12], v[8:9], off
	global_load_b32 v14, v36, s[48:49]
	s_waitcnt vmcnt(3)
	v_dual_mov_b32 v37, v7 :: v_dual_mov_b32 v38, v6
	s_add_i32 s86, s86, -1
	s_add_u32 s48, s48, -4
	s_addc_u32 s49, s49, -1
	s_add_u32 s2, s2, -4
	s_addc_u32 s3, s3, -1
	s_cmp_eq_u32 s86, 0
	s_waitcnt vmcnt(1)
	v_mul_f32_e32 v40, v13, v12
	s_waitcnt vmcnt(0)
	v_mul_f32_e32 v7, v14, v12
	v_mul_f32_e32 v6, v14, v11
	s_delay_alu instid0(VALU_DEP_3) | instskip(NEXT) | instid1(VALU_DEP_3)
	v_fma_f32 v12, v37, v14, -v40
	v_fmac_f32_e32 v7, v37, v13
	s_delay_alu instid0(VALU_DEP_3) | instskip(NEXT) | instid1(VALU_DEP_1)
	v_dual_mul_f32 v39, v13, v11 :: v_dual_fmac_f32 v6, v38, v13
	v_fma_f32 v11, v38, v14, -v39
	global_store_b64 v[8:9], v[11:12], off offset:8
	v_add_co_u32 v8, vcc_lo, v8, -8
	v_add_co_ci_u32_e32 v9, vcc_lo, -1, v9, vcc_lo
	s_cbranch_scc0 .LBB15_17
	s_branch .LBB15_15
.LBB15_18:                              ;   in Loop: Header=BB15_4 Depth=1
	s_or_b32 exec_lo, exec_lo, s82
	s_mov_b32 s2, 0
.LBB15_19:                              ;   in Loop: Header=BB15_4 Depth=1
	s_delay_alu instid0(SALU_CYCLE_1)
	s_and_not1_b32 vcc_lo, exec_lo, s2
	s_cbranch_vccnz .LBB15_3
; %bb.20:                               ;   in Loop: Header=BB15_4 Depth=1
	s_and_not1_b32 vcc_lo, exec_lo, s55
	s_mov_b32 s2, -1
	s_cbranch_vccnz .LBB15_27
; %bb.21:                               ;   in Loop: Header=BB15_4 Depth=1
	s_and_saveexec_b32 s82, s0
	s_cbranch_execz .LBB15_26
; %bb.22:                               ;   in Loop: Header=BB15_4 Depth=1
	v_add_co_u32 v2, vcc_lo, v18, s79
	v_add_co_ci_u32_e32 v3, vcc_lo, s76, v19, vcc_lo
	v_mov_b32_e32 v10, v1
	s_mov_b32 s83, 0
	s_branch .LBB15_24
.LBB15_23:                              ;   in Loop: Header=BB15_24 Depth=2
	v_add_nc_u32_e32 v10, s26, v10
	v_add_co_u32 v2, s2, v2, s36
	s_delay_alu instid0(VALU_DEP_1) | instskip(NEXT) | instid1(VALU_DEP_3)
	v_add_co_ci_u32_e64 v3, s2, s37, v3, s2
	v_cmp_le_i32_e32 vcc_lo, s52, v10
	s_waitcnt vmcnt(0)
	global_store_b64 v[4:5], v[6:7], off
	s_or_b32 s83, vcc_lo, s83
	s_delay_alu instid0(SALU_CYCLE_1)
	s_and_not1_b32 exec_lo, exec_lo, s83
	s_cbranch_execz .LBB15_26
.LBB15_24:                              ;   Parent Loop BB15_4 Depth=1
                                        ; =>  This Loop Header: Depth=2
                                        ;       Child Loop BB15_25 Depth 3
	s_delay_alu instid0(VALU_DEP_1) | instskip(SKIP_4) | instid1(VALU_DEP_2)
	v_mad_i64_i32 v[4:5], null, v10, s12, 0
	v_dual_mov_b32 v9, v3 :: v_dual_mov_b32 v8, v2
	s_mov_b32 s84, s30
	s_mov_b64 s[2:3], s[20:21]
	s_mov_b64 s[48:49], s[42:43]
	v_lshlrev_b64 v[4:5], 3, v[4:5]
	s_delay_alu instid0(VALU_DEP_1) | instskip(NEXT) | instid1(VALU_DEP_2)
	v_add_co_u32 v4, vcc_lo, s77, v4
	v_add_co_ci_u32_e32 v5, vcc_lo, s78, v5, vcc_lo
	s_and_not1_b32 vcc_lo, exec_lo, s54
	global_load_b64 v[6:7], v[4:5], off
	s_cbranch_vccnz .LBB15_23
	.p2align	6
.LBB15_25:                              ;   Parent Loop BB15_4 Depth=1
                                        ;     Parent Loop BB15_24 Depth=2
                                        ; =>    This Inner Loop Header: Depth=3
	s_clause 0x1
	global_load_b32 v13, v36, s[48:49]
	global_load_b32 v14, v36, s[2:3]
	global_load_b64 v[11:12], v[8:9], off
	s_waitcnt vmcnt(3)
	v_dual_mov_b32 v37, v7 :: v_dual_mov_b32 v38, v6
	s_add_u32 s48, s48, 4
	s_addc_u32 s49, s49, 0
	s_add_u32 s2, s2, 4
	s_addc_u32 s3, s3, 0
	s_add_i32 s84, s84, -1
	s_delay_alu instid0(SALU_CYCLE_1)
	s_cmp_eq_u32 s84, 0
	s_waitcnt vmcnt(2)
	v_mul_f32_e32 v39, v38, v13
	v_mul_f32_e32 v40, v37, v13
	s_waitcnt vmcnt(0)
	v_mul_f32_e32 v6, v13, v11
	v_mul_f32_e32 v7, v13, v12
	v_fma_f32 v11, v14, v11, -v39
	v_fma_f32 v12, v14, v12, -v40
	s_delay_alu instid0(VALU_DEP_4) | instskip(NEXT) | instid1(VALU_DEP_4)
	v_fmac_f32_e32 v6, v38, v14
	v_fmac_f32_e32 v7, v37, v14
	global_store_b64 v[8:9], v[11:12], off
	v_add_co_u32 v8, vcc_lo, v8, 8
	v_add_co_ci_u32_e32 v9, vcc_lo, 0, v9, vcc_lo
	s_cbranch_scc0 .LBB15_25
	s_branch .LBB15_23
.LBB15_26:                              ;   in Loop: Header=BB15_4 Depth=1
	s_or_b32 exec_lo, exec_lo, s82
	s_mov_b32 s2, 0
.LBB15_27:                              ;   in Loop: Header=BB15_4 Depth=1
	s_delay_alu instid0(SALU_CYCLE_1)
	s_and_not1_b32 vcc_lo, exec_lo, s2
	s_cbranch_vccnz .LBB15_3
; %bb.28:                               ;   in Loop: Header=BB15_4 Depth=1
	s_and_not1_b32 vcc_lo, exec_lo, s56
	s_mov_b32 s2, -1
	s_cbranch_vccnz .LBB15_35
; %bb.29:                               ;   in Loop: Header=BB15_4 Depth=1
	s_and_saveexec_b32 s82, s0
	s_cbranch_execz .LBB15_34
; %bb.30:                               ;   in Loop: Header=BB15_4 Depth=1
	v_add_co_u32 v2, vcc_lo, v22, s79
	v_add_co_ci_u32_e32 v3, vcc_lo, s76, v23, vcc_lo
	v_mov_b32_e32 v10, v1
	s_mov_b32 s83, 0
	s_branch .LBB15_32
.LBB15_31:                              ;   in Loop: Header=BB15_32 Depth=2
	v_add_nc_u32_e32 v10, s26, v10
	v_add_co_u32 v2, s2, v2, s36
	s_delay_alu instid0(VALU_DEP_1) | instskip(NEXT) | instid1(VALU_DEP_3)
	v_add_co_ci_u32_e64 v3, s2, s37, v3, s2
	v_cmp_le_i32_e32 vcc_lo, s52, v10
	s_waitcnt vmcnt(0)
	global_store_b64 v[4:5], v[6:7], off
	s_or_b32 s83, vcc_lo, s83
	s_delay_alu instid0(SALU_CYCLE_1)
	s_and_not1_b32 exec_lo, exec_lo, s83
	s_cbranch_execz .LBB15_34
.LBB15_32:                              ;   Parent Loop BB15_4 Depth=1
                                        ; =>  This Loop Header: Depth=2
                                        ;       Child Loop BB15_33 Depth 3
	s_delay_alu instid0(VALU_DEP_1) | instskip(SKIP_4) | instid1(VALU_DEP_2)
	v_mad_i64_i32 v[4:5], null, v10, s12, 0
	v_dual_mov_b32 v9, v3 :: v_dual_mov_b32 v8, v2
	s_mov_b64 s[2:3], s[46:47]
	s_mov_b64 s[48:49], s[44:45]
	s_mov_b32 s84, s71
	v_lshlrev_b64 v[4:5], 3, v[4:5]
	s_delay_alu instid0(VALU_DEP_1) | instskip(NEXT) | instid1(VALU_DEP_2)
	v_add_co_u32 v4, vcc_lo, s77, v4
	v_add_co_ci_u32_e32 v5, vcc_lo, s78, v5, vcc_lo
	s_and_not1_b32 vcc_lo, exec_lo, s54
	global_load_b64 v[6:7], v[4:5], off
	s_cbranch_vccnz .LBB15_31
	.p2align	6
.LBB15_33:                              ;   Parent Loop BB15_4 Depth=1
                                        ;     Parent Loop BB15_32 Depth=2
                                        ; =>    This Inner Loop Header: Depth=3
	s_clause 0x1
	global_load_b32 v13, v36, s[2:3]
	global_load_b32 v14, v36, s[48:49]
	global_load_b64 v[11:12], v[8:9], off offset:-4
	s_waitcnt vmcnt(3)
	v_dual_mov_b32 v37, v7 :: v_dual_mov_b32 v38, v6
	s_add_i32 s84, s84, -1
	s_add_u32 s48, s48, -4
	s_addc_u32 s49, s49, -1
	s_add_u32 s2, s2, -4
	s_addc_u32 s3, s3, -1
	s_cmp_lt_u32 s84, 3
	s_waitcnt vmcnt(2)
	v_mul_f32_e32 v39, v38, v13
	v_mul_f32_e32 v40, v37, v13
	s_waitcnt vmcnt(0)
	v_mul_f32_e32 v6, v13, v11
	v_mul_f32_e32 v7, v13, v12
	v_fma_f32 v11, v14, v11, -v39
	v_fma_f32 v12, v14, v12, -v40
	s_delay_alu instid0(VALU_DEP_4) | instskip(NEXT) | instid1(VALU_DEP_4)
	v_fmac_f32_e32 v6, v38, v14
	v_fmac_f32_e32 v7, v37, v14
	global_store_b64 v[8:9], v[11:12], off offset:-4
	v_add_co_u32 v8, vcc_lo, v8, -8
	v_add_co_ci_u32_e32 v9, vcc_lo, -1, v9, vcc_lo
	s_cbranch_scc0 .LBB15_33
	s_branch .LBB15_31
.LBB15_34:                              ;   in Loop: Header=BB15_4 Depth=1
	s_or_b32 exec_lo, exec_lo, s82
	s_mov_b32 s2, 0
.LBB15_35:                              ;   in Loop: Header=BB15_4 Depth=1
	s_delay_alu instid0(SALU_CYCLE_1)
	s_and_not1_b32 vcc_lo, exec_lo, s2
	s_cbranch_vccnz .LBB15_3
; %bb.36:                               ;   in Loop: Header=BB15_4 Depth=1
	s_and_not1_b32 vcc_lo, exec_lo, s57
	s_mov_b32 s2, -1
	s_cbranch_vccnz .LBB15_43
; %bb.37:                               ;   in Loop: Header=BB15_4 Depth=1
	s_and_saveexec_b32 s82, s0
	s_cbranch_execz .LBB15_42
; %bb.38:                               ;   in Loop: Header=BB15_4 Depth=1
	v_add_co_u32 v2, vcc_lo, v20, s79
	v_add_co_ci_u32_e32 v3, vcc_lo, s76, v21, vcc_lo
	s_lshl_b64 s[2:3], s[22:23], 3
	v_mov_b32_e32 v10, v1
	s_add_u32 s83, s77, s2
	s_addc_u32 s84, s78, s3
	s_mov_b32 s85, 0
	s_branch .LBB15_40
.LBB15_39:                              ;   in Loop: Header=BB15_40 Depth=2
	v_add_nc_u32_e32 v10, s26, v10
	v_add_co_u32 v2, s2, v2, s36
	s_delay_alu instid0(VALU_DEP_1) | instskip(NEXT) | instid1(VALU_DEP_3)
	v_add_co_ci_u32_e64 v3, s2, s37, v3, s2
	v_cmp_le_i32_e32 vcc_lo, s52, v10
	s_waitcnt vmcnt(0)
	global_store_b64 v[4:5], v[6:7], off offset:-8
	s_or_b32 s85, vcc_lo, s85
	s_delay_alu instid0(SALU_CYCLE_1)
	s_and_not1_b32 exec_lo, exec_lo, s85
	s_cbranch_execz .LBB15_42
.LBB15_40:                              ;   Parent Loop BB15_4 Depth=1
                                        ; =>  This Loop Header: Depth=2
                                        ;       Child Loop BB15_41 Depth 3
	v_mad_i64_i32 v[4:5], null, v10, s12, 0
	v_dual_mov_b32 v9, v3 :: v_dual_mov_b32 v8, v2
	s_mov_b64 s[2:3], s[42:43]
	s_mov_b64 s[48:49], s[20:21]
	s_mov_b32 s86, s30
	s_delay_alu instid0(VALU_DEP_2) | instskip(NEXT) | instid1(VALU_DEP_1)
	v_lshlrev_b64 v[4:5], 3, v[4:5]
	v_add_co_u32 v4, vcc_lo, s83, v4
	s_delay_alu instid0(VALU_DEP_2)
	v_add_co_ci_u32_e32 v5, vcc_lo, s84, v5, vcc_lo
	s_and_not1_b32 vcc_lo, exec_lo, s54
	global_load_b64 v[6:7], v[4:5], off offset:-8
	s_cbranch_vccnz .LBB15_39
	.p2align	6
.LBB15_41:                              ;   Parent Loop BB15_4 Depth=1
                                        ;     Parent Loop BB15_40 Depth=2
                                        ; =>    This Inner Loop Header: Depth=3
	global_load_b64 v[11:12], v[8:9], off offset:-4
	s_clause 0x1
	global_load_b32 v37, v36, s[48:49]
	global_load_b32 v38, v36, s[2:3]
	s_add_i32 s86, s86, -1
	s_add_u32 s48, s48, 4
	s_addc_u32 s49, s49, 0
	s_add_u32 s2, s2, 4
	s_addc_u32 s3, s3, 0
	s_cmp_eq_u32 s86, 0
	s_waitcnt vmcnt(1)
	v_mul_f32_e32 v13, v37, v11
	s_waitcnt vmcnt(0)
	v_dual_mul_f32 v14, v37, v12 :: v_dual_mul_f32 v11, v38, v11
	v_mul_f32_e32 v12, v38, v12
	s_delay_alu instid0(VALU_DEP_3) | instskip(NEXT) | instid1(VALU_DEP_3)
	v_fmac_f32_e32 v13, v6, v38
	v_fmac_f32_e32 v14, v7, v38
	s_delay_alu instid0(VALU_DEP_4) | instskip(NEXT) | instid1(VALU_DEP_4)
	v_fma_f32 v6, v6, v37, -v11
	v_fma_f32 v7, v7, v37, -v12
	global_store_b64 v[8:9], v[13:14], off offset:-4
	v_add_co_u32 v8, vcc_lo, v8, 8
	v_add_co_ci_u32_e32 v9, vcc_lo, 0, v9, vcc_lo
	s_cbranch_scc0 .LBB15_41
	s_branch .LBB15_39
.LBB15_42:                              ;   in Loop: Header=BB15_4 Depth=1
	s_or_b32 exec_lo, exec_lo, s82
	s_mov_b32 s2, 0
.LBB15_43:                              ;   in Loop: Header=BB15_4 Depth=1
	s_delay_alu instid0(SALU_CYCLE_1)
	s_and_not1_b32 vcc_lo, exec_lo, s2
	s_cbranch_vccnz .LBB15_3
; %bb.44:                               ;   in Loop: Header=BB15_4 Depth=1
	s_and_not1_b32 vcc_lo, exec_lo, s58
	s_mov_b32 s2, -1
	s_cbranch_vccnz .LBB15_51
; %bb.45:                               ;   in Loop: Header=BB15_4 Depth=1
	s_and_saveexec_b32 s82, s0
	s_cbranch_execz .LBB15_50
; %bb.46:                               ;   in Loop: Header=BB15_4 Depth=1
	v_add_co_u32 v2, vcc_lo, v24, s79
	v_add_co_ci_u32_e32 v3, vcc_lo, s76, v25, vcc_lo
	s_lshl_b64 s[2:3], s[22:23], 3
	v_mov_b32_e32 v10, v1
	s_add_u32 s83, s77, s2
	s_addc_u32 s84, s78, s3
	s_mov_b32 s85, 0
	s_branch .LBB15_48
.LBB15_47:                              ;   in Loop: Header=BB15_48 Depth=2
	v_add_nc_u32_e32 v10, s26, v10
	v_add_co_u32 v2, s2, v2, s36
	s_delay_alu instid0(VALU_DEP_1) | instskip(NEXT) | instid1(VALU_DEP_3)
	v_add_co_ci_u32_e64 v3, s2, s37, v3, s2
	v_cmp_le_i32_e32 vcc_lo, s52, v10
	s_waitcnt vmcnt(0)
	global_store_b64 v[4:5], v[6:7], off offset:-8
	s_or_b32 s85, vcc_lo, s85
	s_delay_alu instid0(SALU_CYCLE_1)
	s_and_not1_b32 exec_lo, exec_lo, s85
	s_cbranch_execz .LBB15_50
.LBB15_48:                              ;   Parent Loop BB15_4 Depth=1
                                        ; =>  This Loop Header: Depth=2
                                        ;       Child Loop BB15_49 Depth 3
	v_mad_i64_i32 v[4:5], null, v10, s12, 0
	v_dual_mov_b32 v9, v3 :: v_dual_mov_b32 v8, v2
	s_mov_b64 s[2:3], s[46:47]
	s_mov_b64 s[48:49], s[44:45]
	s_mov_b32 s86, s30
	s_delay_alu instid0(VALU_DEP_2) | instskip(NEXT) | instid1(VALU_DEP_1)
	v_lshlrev_b64 v[4:5], 3, v[4:5]
	v_add_co_u32 v4, vcc_lo, s83, v4
	s_delay_alu instid0(VALU_DEP_2)
	v_add_co_ci_u32_e32 v5, vcc_lo, s84, v5, vcc_lo
	s_and_not1_b32 vcc_lo, exec_lo, s54
	global_load_b64 v[6:7], v[4:5], off offset:-8
	s_cbranch_vccnz .LBB15_47
	.p2align	6
.LBB15_49:                              ;   Parent Loop BB15_4 Depth=1
                                        ;     Parent Loop BB15_48 Depth=2
                                        ; =>    This Inner Loop Header: Depth=3
	global_load_b64 v[11:12], v[8:9], off offset:-4
	s_clause 0x1
	global_load_b32 v37, v36, s[48:49]
	global_load_b32 v38, v36, s[2:3]
	s_add_i32 s86, s86, -1
	s_add_u32 s48, s48, -4
	s_addc_u32 s49, s49, -1
	s_add_u32 s2, s2, -4
	s_addc_u32 s3, s3, -1
	s_cmp_eq_u32 s86, 0
	s_waitcnt vmcnt(1)
	v_mul_f32_e32 v13, v37, v11
	s_waitcnt vmcnt(0)
	v_dual_mul_f32 v14, v37, v12 :: v_dual_mul_f32 v11, v38, v11
	v_mul_f32_e32 v12, v38, v12
	s_delay_alu instid0(VALU_DEP_3) | instskip(NEXT) | instid1(VALU_DEP_3)
	v_fmac_f32_e32 v13, v6, v38
	v_fmac_f32_e32 v14, v7, v38
	s_delay_alu instid0(VALU_DEP_4) | instskip(NEXT) | instid1(VALU_DEP_4)
	v_fma_f32 v6, v6, v37, -v11
	v_fma_f32 v7, v7, v37, -v12
	global_store_b64 v[8:9], v[13:14], off offset:-4
	v_add_co_u32 v8, vcc_lo, v8, -8
	v_add_co_ci_u32_e32 v9, vcc_lo, -1, v9, vcc_lo
	s_cbranch_scc0 .LBB15_49
	s_branch .LBB15_47
.LBB15_50:                              ;   in Loop: Header=BB15_4 Depth=1
	s_or_b32 exec_lo, exec_lo, s82
	s_mov_b32 s2, 0
.LBB15_51:                              ;   in Loop: Header=BB15_4 Depth=1
	s_delay_alu instid0(SALU_CYCLE_1)
	s_and_not1_b32 vcc_lo, exec_lo, s2
	s_cbranch_vccnz .LBB15_3
; %bb.52:                               ;   in Loop: Header=BB15_4 Depth=1
	v_add_co_u32 v2, vcc_lo, v26, s79
	v_add_co_ci_u32_e32 v3, vcc_lo, s76, v27, vcc_lo
	s_and_not1_b32 vcc_lo, exec_lo, s59
	s_mov_b32 s2, -1
	s_cbranch_vccnz .LBB15_59
; %bb.53:                               ;   in Loop: Header=BB15_4 Depth=1
	s_and_saveexec_b32 s46, s1
	s_cbranch_execz .LBB15_58
; %bb.54:                               ;   in Loop: Header=BB15_4 Depth=1
	s_lshl_b64 s[2:3], s[28:29], 3
	v_dual_mov_b32 v5, v3 :: v_dual_mov_b32 v4, v2
	v_mov_b32_e32 v6, v1
	s_add_u32 s47, s77, s2
	s_addc_u32 s48, s78, s3
	s_mov_b32 s49, 0
	s_branch .LBB15_56
.LBB15_55:                              ;   in Loop: Header=BB15_56 Depth=2
	v_add_nc_u32_e32 v6, s26, v6
	v_add_co_u32 v7, vcc_lo, s47, v7
	v_add_co_ci_u32_e32 v8, vcc_lo, s48, v8, vcc_lo
	s_delay_alu instid0(VALU_DEP_3) | instskip(SKIP_1) | instid1(VALU_DEP_1)
	v_cmp_le_i32_e32 vcc_lo, s19, v6
	v_add_co_u32 v4, s2, v4, s38
	v_add_co_ci_u32_e64 v5, s2, s39, v5, s2
	s_or_b32 s49, vcc_lo, s49
	s_waitcnt vmcnt(0)
	global_store_b64 v[7:8], v[9:10], off
	s_and_not1_b32 exec_lo, exec_lo, s49
	s_cbranch_execz .LBB15_58
.LBB15_56:                              ;   Parent Loop BB15_4 Depth=1
                                        ; =>  This Loop Header: Depth=2
                                        ;       Child Loop BB15_57 Depth 3
	v_ashrrev_i32_e32 v7, 31, v6
	v_dual_mov_b32 v12, v5 :: v_dual_mov_b32 v11, v4
	s_mov_b64 s[2:3], s[42:43]
	s_mov_b64 s[44:45], s[20:21]
	s_delay_alu instid0(VALU_DEP_2) | instskip(SKIP_1) | instid1(VALU_DEP_1)
	v_lshlrev_b64 v[7:8], 3, v[6:7]
	s_mov_b32 s82, s60
	v_add_co_u32 v9, vcc_lo, s77, v7
	s_delay_alu instid0(VALU_DEP_2)
	v_add_co_ci_u32_e32 v10, vcc_lo, s78, v8, vcc_lo
	s_and_not1_b32 vcc_lo, exec_lo, s62
	global_load_b64 v[9:10], v[9:10], off
	s_cbranch_vccnz .LBB15_55
	.p2align	6
.LBB15_57:                              ;   Parent Loop BB15_4 Depth=1
                                        ;     Parent Loop BB15_56 Depth=2
                                        ; =>    This Inner Loop Header: Depth=3
	s_delay_alu instid0(VALU_DEP_2)
	v_add_co_u32 v13, vcc_lo, v11, s40
	v_add_co_ci_u32_e32 v14, vcc_lo, s41, v12, vcc_lo
	s_add_i32 s82, s82, -1
	global_load_b32 v41, v36, s[2:3]
	global_load_b64 v[37:38], v[13:14], off offset:-4
	global_load_b32 v42, v36, s[44:45]
	s_add_u32 s44, s44, 4
	s_addc_u32 s45, s45, 0
	s_add_u32 s2, s2, 4
	s_addc_u32 s3, s3, 0
	s_cmp_eq_u32 s82, 0
	s_waitcnt vmcnt(2)
	v_mul_f32_e32 v43, v9, v41
	s_waitcnt vmcnt(1)
	v_mul_f32_e32 v40, v41, v38
	v_mul_f32_e32 v39, v41, v37
	;; [unrolled: 1-line block ×3, first 2 shown]
	s_waitcnt vmcnt(0)
	s_delay_alu instid0(VALU_DEP_3) | instskip(NEXT) | instid1(VALU_DEP_3)
	v_fmac_f32_e32 v40, v10, v42
	v_fmac_f32_e32 v39, v9, v42
	s_delay_alu instid0(VALU_DEP_3)
	v_fma_f32 v10, v42, v38, -v41
	global_store_b64 v[11:12], v[39:40], off offset:-4
	v_dual_mov_b32 v11, v13 :: v_dual_mov_b32 v12, v14
	v_fma_f32 v9, v42, v37, -v43
	s_cbranch_scc0 .LBB15_57
	s_branch .LBB15_55
.LBB15_58:                              ;   in Loop: Header=BB15_4 Depth=1
	s_or_b32 exec_lo, exec_lo, s46
	s_mov_b32 s2, 0
.LBB15_59:                              ;   in Loop: Header=BB15_4 Depth=1
	s_delay_alu instid0(SALU_CYCLE_1)
	s_and_not1_b32 vcc_lo, exec_lo, s2
	s_cbranch_vccnz .LBB15_3
; %bb.60:                               ;   in Loop: Header=BB15_4 Depth=1
	v_add_co_u32 v4, vcc_lo, v30, s79
	s_add_u32 s44, s13, s80
	v_add_co_ci_u32_e32 v5, vcc_lo, s76, v31, vcc_lo
	s_addc_u32 s45, s27, s50
	s_add_u32 s46, s31, s81
	s_addc_u32 s47, s72, s51
	s_and_not1_b32 vcc_lo, exec_lo, s61
	s_mov_b32 s2, -1
	s_cbranch_vccnz .LBB15_68
; %bb.61:                               ;   in Loop: Header=BB15_4 Depth=1
	s_and_saveexec_b32 s80, s1
	s_cbranch_execz .LBB15_67
; %bb.62:                               ;   in Loop: Header=BB15_4 Depth=1
	v_add_co_u32 v13, vcc_lo, v28, s79
	v_add_co_ci_u32_e32 v14, vcc_lo, s76, v29, vcc_lo
	s_lshl_b64 s[2:3], s[28:29], 3
	v_dual_mov_b32 v7, v5 :: v_dual_mov_b32 v6, v4
	v_mov_b32_e32 v8, v1
	s_add_u32 s81, s77, s2
	s_addc_u32 s82, s78, s3
	s_mov_b32 s83, 0
	s_branch .LBB15_64
.LBB15_63:                              ;   in Loop: Header=BB15_64 Depth=2
	s_set_inst_prefetch_distance 0x2
	v_add_co_u32 v9, vcc_lo, s77, v9
	v_add_nc_u32_e32 v8, s26, v8
	v_add_co_ci_u32_e32 v10, vcc_lo, s78, v10, vcc_lo
	v_add_co_u32 v13, vcc_lo, v13, s38
	v_add_co_ci_u32_e32 v14, vcc_lo, s39, v14, vcc_lo
	s_delay_alu instid0(VALU_DEP_4) | instskip(SKIP_1) | instid1(VALU_DEP_1)
	v_cmp_le_i32_e32 vcc_lo, s19, v8
	v_add_co_u32 v6, s2, v6, s38
	v_add_co_ci_u32_e64 v7, s2, s39, v7, s2
	s_or_b32 s83, vcc_lo, s83
	s_waitcnt vmcnt(0)
	global_store_b64 v[9:10], v[11:12], off
	s_and_not1_b32 exec_lo, exec_lo, s83
	s_cbranch_execz .LBB15_67
.LBB15_64:                              ;   Parent Loop BB15_4 Depth=1
                                        ; =>  This Loop Header: Depth=2
                                        ;       Child Loop BB15_66 Depth 3
	v_ashrrev_i32_e32 v9, 31, v8
	s_delay_alu instid0(VALU_DEP_1) | instskip(NEXT) | instid1(VALU_DEP_1)
	v_lshlrev_b64 v[9:10], 3, v[8:9]
	v_add_co_u32 v11, vcc_lo, s81, v9
	s_delay_alu instid0(VALU_DEP_2)
	v_add_co_ci_u32_e32 v12, vcc_lo, s82, v10, vcc_lo
	s_and_not1_b32 vcc_lo, exec_lo, s62
	global_load_b64 v[11:12], v[11:12], off
	s_cbranch_vccnz .LBB15_63
; %bb.65:                               ;   in Loop: Header=BB15_64 Depth=2
	s_mov_b64 s[2:3], 0
	s_mov_b64 s[48:49], s[46:47]
	;; [unrolled: 1-line block ×3, first 2 shown]
	s_mov_b32 s84, s60
	s_set_inst_prefetch_distance 0x1
	.p2align	6
.LBB15_66:                              ;   Parent Loop BB15_4 Depth=1
                                        ;     Parent Loop BB15_64 Depth=2
                                        ; =>    This Inner Loop Header: Depth=3
	v_add_co_u32 v37, vcc_lo, v13, s2
	v_add_co_ci_u32_e32 v38, vcc_lo, s3, v14, vcc_lo
	s_waitcnt vmcnt(0)
	v_dual_mov_b32 v43, v12 :: v_dual_mov_b32 v44, v11
	s_clause 0x1
	global_load_b32 v41, v36, s[50:51]
	global_load_b32 v42, v36, s[48:49]
	global_load_b64 v[37:38], v[37:38], off
	v_add_co_u32 v39, vcc_lo, v6, s2
	s_add_i32 s84, s84, -1
	s_sub_u32 s2, s2, s40
	v_add_co_ci_u32_e32 v40, vcc_lo, s3, v7, vcc_lo
	s_subb_u32 s3, s3, s41
	s_add_u32 s50, s50, -4
	s_addc_u32 s51, s51, -1
	s_add_u32 s48, s48, -4
	s_addc_u32 s49, s49, -1
	s_cmp_eq_u32 s84, 0
	s_waitcnt vmcnt(0)
	v_dual_mul_f32 v45, v42, v37 :: v_dual_mul_f32 v12, v41, v38
	v_dual_mul_f32 v46, v42, v38 :: v_dual_mul_f32 v11, v41, v37
	s_delay_alu instid0(VALU_DEP_2) | instskip(NEXT) | instid1(VALU_DEP_3)
	v_fma_f32 v37, v44, v41, -v45
	v_fmac_f32_e32 v12, v43, v42
	s_delay_alu instid0(VALU_DEP_3) | instskip(NEXT) | instid1(VALU_DEP_4)
	v_fma_f32 v38, v43, v41, -v46
	v_fmac_f32_e32 v11, v44, v42
	global_store_b64 v[39:40], v[37:38], off offset:-4
	s_cbranch_scc0 .LBB15_66
	s_branch .LBB15_63
.LBB15_67:                              ;   in Loop: Header=BB15_4 Depth=1
	s_or_b32 exec_lo, exec_lo, s80
	s_mov_b32 s2, 0
.LBB15_68:                              ;   in Loop: Header=BB15_4 Depth=1
	s_delay_alu instid0(SALU_CYCLE_1)
	s_and_not1_b32 vcc_lo, exec_lo, s2
	s_cbranch_vccnz .LBB15_3
; %bb.69:                               ;   in Loop: Header=BB15_4 Depth=1
	s_and_not1_b32 vcc_lo, exec_lo, s63
	s_mov_b32 s2, -1
	s_cbranch_vccnz .LBB15_76
; %bb.70:                               ;   in Loop: Header=BB15_4 Depth=1
	s_and_saveexec_b32 s50, s1
	s_cbranch_execz .LBB15_75
; %bb.71:                               ;   in Loop: Header=BB15_4 Depth=1
	v_add_co_u32 v6, vcc_lo, v32, s79
	v_add_co_ci_u32_e32 v7, vcc_lo, s76, v33, vcc_lo
	v_mov_b32_e32 v8, v1
	s_mov_b32 s51, 0
	s_branch .LBB15_73
.LBB15_72:                              ;   in Loop: Header=BB15_73 Depth=2
	v_add_nc_u32_e32 v8, s26, v8
	v_add_co_u32 v6, s2, v6, s38
	s_delay_alu instid0(VALU_DEP_1) | instskip(NEXT) | instid1(VALU_DEP_3)
	v_add_co_ci_u32_e64 v7, s2, s39, v7, s2
	v_cmp_le_i32_e32 vcc_lo, s19, v8
	s_waitcnt vmcnt(0)
	global_store_b64 v[9:10], v[11:12], off
	s_or_b32 s51, vcc_lo, s51
	s_delay_alu instid0(SALU_CYCLE_1)
	s_and_not1_b32 exec_lo, exec_lo, s51
	s_cbranch_execz .LBB15_75
.LBB15_73:                              ;   Parent Loop BB15_4 Depth=1
                                        ; =>  This Loop Header: Depth=2
                                        ;       Child Loop BB15_74 Depth 3
	s_delay_alu instid0(VALU_DEP_1) | instskip(SKIP_3) | instid1(VALU_DEP_2)
	v_ashrrev_i32_e32 v9, 31, v8
	v_dual_mov_b32 v14, v7 :: v_dual_mov_b32 v13, v6
	s_mov_b32 s80, s60
	s_mov_b64 s[2:3], s[20:21]
	v_lshlrev_b64 v[9:10], 3, v[8:9]
	s_mov_b64 s[48:49], s[42:43]
	s_delay_alu instid0(VALU_DEP_1) | instskip(NEXT) | instid1(VALU_DEP_2)
	v_add_co_u32 v9, vcc_lo, s77, v9
	v_add_co_ci_u32_e32 v10, vcc_lo, s78, v10, vcc_lo
	s_and_not1_b32 vcc_lo, exec_lo, s62
	global_load_b64 v[11:12], v[9:10], off
	s_cbranch_vccnz .LBB15_72
	.p2align	6
.LBB15_74:                              ;   Parent Loop BB15_4 Depth=1
                                        ;     Parent Loop BB15_73 Depth=2
                                        ; =>    This Inner Loop Header: Depth=3
	s_clause 0x1
	global_load_b32 v39, v36, s[48:49]
	global_load_b32 v40, v36, s[2:3]
	global_load_b64 v[37:38], v[13:14], off offset:-4
	s_waitcnt vmcnt(3)
	v_dual_mov_b32 v41, v12 :: v_dual_mov_b32 v42, v11
	s_add_u32 s48, s48, 4
	s_addc_u32 s49, s49, 0
	s_add_u32 s2, s2, 4
	s_addc_u32 s3, s3, 0
	s_add_i32 s80, s80, -1
	s_delay_alu instid0(SALU_CYCLE_1)
	s_cmp_eq_u32 s80, 0
	s_waitcnt vmcnt(2)
	v_mul_f32_e32 v43, v42, v39
	s_waitcnt vmcnt(0)
	v_dual_mul_f32 v44, v41, v39 :: v_dual_mul_f32 v11, v39, v37
	v_mul_f32_e32 v12, v39, v38
	s_delay_alu instid0(VALU_DEP_3) | instskip(NEXT) | instid1(VALU_DEP_3)
	v_fma_f32 v37, v40, v37, -v43
	v_fma_f32 v38, v40, v38, -v44
	s_delay_alu instid0(VALU_DEP_4) | instskip(NEXT) | instid1(VALU_DEP_4)
	v_fmac_f32_e32 v11, v42, v40
	v_fmac_f32_e32 v12, v41, v40
	global_store_b64 v[13:14], v[37:38], off offset:-4
	v_add_co_u32 v13, vcc_lo, v13, s40
	v_add_co_ci_u32_e32 v14, vcc_lo, s41, v14, vcc_lo
	s_cbranch_scc0 .LBB15_74
	s_branch .LBB15_72
.LBB15_75:                              ;   in Loop: Header=BB15_4 Depth=1
	s_or_b32 exec_lo, exec_lo, s50
	s_mov_b32 s2, 0
.LBB15_76:                              ;   in Loop: Header=BB15_4 Depth=1
	s_delay_alu instid0(SALU_CYCLE_1)
	s_and_not1_b32 vcc_lo, exec_lo, s2
	s_cbranch_vccnz .LBB15_3
; %bb.77:                               ;   in Loop: Header=BB15_4 Depth=1
	s_and_not1_b32 vcc_lo, exec_lo, s64
	s_mov_b32 s2, -1
	s_cbranch_vccnz .LBB15_84
; %bb.78:                               ;   in Loop: Header=BB15_4 Depth=1
	s_and_saveexec_b32 s50, s1
	s_cbranch_execz .LBB15_83
; %bb.79:                               ;   in Loop: Header=BB15_4 Depth=1
	v_mov_b32_e32 v6, v1
	s_mov_b32 s51, 0
	s_branch .LBB15_81
.LBB15_80:                              ;   in Loop: Header=BB15_81 Depth=2
	v_add_nc_u32_e32 v6, s26, v6
	v_add_co_u32 v4, s2, v4, s38
	s_delay_alu instid0(VALU_DEP_1) | instskip(NEXT) | instid1(VALU_DEP_3)
	v_add_co_ci_u32_e64 v5, s2, s39, v5, s2
	v_cmp_le_i32_e32 vcc_lo, s19, v6
	s_waitcnt vmcnt(0)
	global_store_b64 v[7:8], v[9:10], off
	s_or_b32 s51, vcc_lo, s51
	s_delay_alu instid0(SALU_CYCLE_1)
	s_and_not1_b32 exec_lo, exec_lo, s51
	s_cbranch_execz .LBB15_83
.LBB15_81:                              ;   Parent Loop BB15_4 Depth=1
                                        ; =>  This Loop Header: Depth=2
                                        ;       Child Loop BB15_82 Depth 3
	s_delay_alu instid0(VALU_DEP_1) | instskip(SKIP_3) | instid1(VALU_DEP_2)
	v_ashrrev_i32_e32 v7, 31, v6
	v_dual_mov_b32 v12, v5 :: v_dual_mov_b32 v11, v4
	s_mov_b64 s[2:3], s[46:47]
	s_mov_b64 s[48:49], s[44:45]
	v_lshlrev_b64 v[7:8], 3, v[6:7]
	s_mov_b32 s80, s73
	s_delay_alu instid0(VALU_DEP_1) | instskip(NEXT) | instid1(VALU_DEP_2)
	v_add_co_u32 v7, vcc_lo, s77, v7
	v_add_co_ci_u32_e32 v8, vcc_lo, s78, v8, vcc_lo
	s_and_not1_b32 vcc_lo, exec_lo, s62
	global_load_b64 v[9:10], v[7:8], off
	s_cbranch_vccnz .LBB15_80
	.p2align	6
.LBB15_82:                              ;   Parent Loop BB15_4 Depth=1
                                        ;     Parent Loop BB15_81 Depth=2
                                        ; =>    This Inner Loop Header: Depth=3
	s_clause 0x1
	global_load_b32 v37, v36, s[2:3]
	global_load_b32 v38, v36, s[48:49]
	global_load_b64 v[13:14], v[11:12], off offset:-4
	s_waitcnt vmcnt(3)
	v_dual_mov_b32 v39, v10 :: v_dual_mov_b32 v40, v9
	s_add_i32 s80, s80, -1
	s_add_u32 s48, s48, -4
	s_addc_u32 s49, s49, -1
	s_add_u32 s2, s2, -4
	s_addc_u32 s3, s3, -1
	s_cmp_lt_u32 s80, 3
	s_waitcnt vmcnt(0)
	v_dual_mul_f32 v41, v40, v37 :: v_dual_mul_f32 v10, v37, v14
	v_mul_f32_e32 v9, v37, v13
	s_delay_alu instid0(VALU_DEP_2) | instskip(NEXT) | instid1(VALU_DEP_3)
	v_fma_f32 v13, v38, v13, -v41
	v_fmac_f32_e32 v10, v39, v38
	s_delay_alu instid0(VALU_DEP_3) | instskip(NEXT) | instid1(VALU_DEP_1)
	v_dual_mul_f32 v42, v39, v37 :: v_dual_fmac_f32 v9, v40, v38
	v_fma_f32 v14, v38, v14, -v42
	global_store_b64 v[11:12], v[13:14], off offset:-4
	v_add_co_u32 v11, vcc_lo, v11, s74
	v_add_co_ci_u32_e32 v12, vcc_lo, s75, v12, vcc_lo
	s_cbranch_scc0 .LBB15_82
	s_branch .LBB15_80
.LBB15_83:                              ;   in Loop: Header=BB15_4 Depth=1
	s_or_b32 exec_lo, exec_lo, s50
	s_mov_b32 s2, 0
.LBB15_84:                              ;   in Loop: Header=BB15_4 Depth=1
	s_delay_alu instid0(SALU_CYCLE_1)
	s_and_not1_b32 vcc_lo, exec_lo, s2
	s_cbranch_vccnz .LBB15_3
; %bb.85:                               ;   in Loop: Header=BB15_4 Depth=1
	s_and_not1_b32 vcc_lo, exec_lo, s65
	s_mov_b32 s2, -1
	s_cbranch_vccnz .LBB15_92
; %bb.86:                               ;   in Loop: Header=BB15_4 Depth=1
	s_and_saveexec_b32 s50, s1
	s_cbranch_execz .LBB15_91
; %bb.87:                               ;   in Loop: Header=BB15_4 Depth=1
	s_lshl_b64 s[2:3], s[28:29], 3
	v_mov_b32_e32 v4, v1
	s_add_u32 s51, s77, s2
	s_addc_u32 s80, s78, s3
	s_mov_b32 s81, 0
	s_branch .LBB15_89
.LBB15_88:                              ;   in Loop: Header=BB15_89 Depth=2
	v_add_nc_u32_e32 v4, s26, v4
	v_add_co_u32 v2, s2, v2, s38
	s_delay_alu instid0(VALU_DEP_1) | instskip(NEXT) | instid1(VALU_DEP_3)
	v_add_co_ci_u32_e64 v3, s2, s39, v3, s2
	v_cmp_le_i32_e32 vcc_lo, s19, v4
	s_waitcnt vmcnt(0)
	global_store_b64 v[5:6], v[7:8], off
	s_or_b32 s81, vcc_lo, s81
	s_delay_alu instid0(SALU_CYCLE_1)
	s_and_not1_b32 exec_lo, exec_lo, s81
	s_cbranch_execz .LBB15_91
.LBB15_89:                              ;   Parent Loop BB15_4 Depth=1
                                        ; =>  This Loop Header: Depth=2
                                        ;       Child Loop BB15_90 Depth 3
	v_ashrrev_i32_e32 v5, 31, v4
	v_dual_mov_b32 v10, v3 :: v_dual_mov_b32 v9, v2
	s_mov_b64 s[2:3], s[42:43]
	s_mov_b64 s[48:49], s[20:21]
	s_delay_alu instid0(VALU_DEP_2) | instskip(SKIP_1) | instid1(VALU_DEP_1)
	v_lshlrev_b64 v[5:6], 3, v[4:5]
	s_mov_b32 s82, s60
	v_add_co_u32 v5, vcc_lo, s51, v5
	s_delay_alu instid0(VALU_DEP_2)
	v_add_co_ci_u32_e32 v6, vcc_lo, s80, v6, vcc_lo
	s_and_not1_b32 vcc_lo, exec_lo, s62
	global_load_b64 v[7:8], v[5:6], off
	s_cbranch_vccnz .LBB15_88
	.p2align	6
.LBB15_90:                              ;   Parent Loop BB15_4 Depth=1
                                        ;     Parent Loop BB15_89 Depth=2
                                        ; =>    This Inner Loop Header: Depth=3
	global_load_b64 v[11:12], v[9:10], off offset:-4
	s_clause 0x1
	global_load_b32 v37, v36, s[48:49]
	global_load_b32 v38, v36, s[2:3]
	s_add_i32 s82, s82, -1
	s_add_u32 s48, s48, 4
	s_addc_u32 s49, s49, 0
	s_add_u32 s2, s2, 4
	s_addc_u32 s3, s3, 0
	s_cmp_eq_u32 s82, 0
	s_waitcnt vmcnt(1)
	v_mul_f32_e32 v13, v37, v11
	s_waitcnt vmcnt(0)
	v_dual_mul_f32 v14, v37, v12 :: v_dual_mul_f32 v11, v38, v11
	s_delay_alu instid0(VALU_DEP_2) | instskip(NEXT) | instid1(VALU_DEP_2)
	v_dual_mul_f32 v12, v38, v12 :: v_dual_fmac_f32 v13, v7, v38
	v_fmac_f32_e32 v14, v8, v38
	s_delay_alu instid0(VALU_DEP_3) | instskip(NEXT) | instid1(VALU_DEP_3)
	v_fma_f32 v7, v7, v37, -v11
	v_fma_f32 v8, v8, v37, -v12
	global_store_b64 v[9:10], v[13:14], off offset:-4
	v_add_co_u32 v9, vcc_lo, v9, s40
	v_add_co_ci_u32_e32 v10, vcc_lo, s41, v10, vcc_lo
	s_cbranch_scc0 .LBB15_90
	s_branch .LBB15_88
.LBB15_91:                              ;   in Loop: Header=BB15_4 Depth=1
	s_or_b32 exec_lo, exec_lo, s50
	s_mov_b32 s2, 0
.LBB15_92:                              ;   in Loop: Header=BB15_4 Depth=1
	s_delay_alu instid0(SALU_CYCLE_1)
	s_and_not1_b32 vcc_lo, exec_lo, s2
	s_cbranch_vccnz .LBB15_3
; %bb.93:                               ;   in Loop: Header=BB15_4 Depth=1
	s_and_saveexec_b32 s42, s66
	s_cbranch_execz .LBB15_2
; %bb.94:                               ;   in Loop: Header=BB15_4 Depth=1
	v_add_co_u32 v2, vcc_lo, v34, s79
	v_add_co_ci_u32_e32 v3, vcc_lo, s76, v35, vcc_lo
	s_lshl_b64 s[2:3], s[28:29], 3
	v_mov_b32_e32 v4, v1
	s_add_u32 s43, s77, s2
	s_addc_u32 s48, s78, s3
	s_mov_b32 s49, 0
	s_branch .LBB15_96
.LBB15_95:                              ;   in Loop: Header=BB15_96 Depth=2
	v_add_nc_u32_e32 v4, s26, v4
	v_add_co_u32 v2, s2, v2, s38
	s_delay_alu instid0(VALU_DEP_1) | instskip(NEXT) | instid1(VALU_DEP_3)
	v_add_co_ci_u32_e64 v3, s2, s39, v3, s2
	v_cmp_le_i32_e32 vcc_lo, s19, v4
	s_waitcnt vmcnt(0)
	global_store_b64 v[5:6], v[7:8], off
	s_or_b32 s49, vcc_lo, s49
	s_delay_alu instid0(SALU_CYCLE_1)
	s_and_not1_b32 exec_lo, exec_lo, s49
	s_cbranch_execz .LBB15_2
.LBB15_96:                              ;   Parent Loop BB15_4 Depth=1
                                        ; =>  This Loop Header: Depth=2
                                        ;       Child Loop BB15_97 Depth 3
	v_ashrrev_i32_e32 v5, 31, v4
	v_dual_mov_b32 v10, v3 :: v_dual_mov_b32 v9, v2
	s_mov_b64 s[2:3], s[46:47]
	s_mov_b64 s[20:21], s[44:45]
	s_delay_alu instid0(VALU_DEP_2) | instskip(SKIP_1) | instid1(VALU_DEP_1)
	v_lshlrev_b64 v[5:6], 3, v[4:5]
	s_mov_b32 s50, s60
	v_add_co_u32 v5, vcc_lo, s43, v5
	s_delay_alu instid0(VALU_DEP_2)
	v_add_co_ci_u32_e32 v6, vcc_lo, s48, v6, vcc_lo
	s_and_not1_b32 vcc_lo, exec_lo, s62
	global_load_b64 v[7:8], v[5:6], off
	s_cbranch_vccnz .LBB15_95
	.p2align	6
.LBB15_97:                              ;   Parent Loop BB15_4 Depth=1
                                        ;     Parent Loop BB15_96 Depth=2
                                        ; =>    This Inner Loop Header: Depth=3
	global_load_b64 v[11:12], v[9:10], off offset:-4
	s_clause 0x1
	global_load_b32 v37, v36, s[20:21]
	global_load_b32 v38, v36, s[2:3]
	s_add_i32 s50, s50, -1
	s_add_u32 s20, s20, -4
	s_addc_u32 s21, s21, -1
	s_add_u32 s2, s2, -4
	s_addc_u32 s3, s3, -1
	s_cmp_eq_u32 s50, 0
	s_waitcnt vmcnt(1)
	v_mul_f32_e32 v13, v37, v11
	s_waitcnt vmcnt(0)
	v_dual_mul_f32 v14, v37, v12 :: v_dual_mul_f32 v11, v38, v11
	s_delay_alu instid0(VALU_DEP_2) | instskip(NEXT) | instid1(VALU_DEP_2)
	v_dual_mul_f32 v12, v38, v12 :: v_dual_fmac_f32 v13, v7, v38
	v_fmac_f32_e32 v14, v8, v38
	s_delay_alu instid0(VALU_DEP_3) | instskip(NEXT) | instid1(VALU_DEP_3)
	v_fma_f32 v7, v7, v37, -v11
	v_fma_f32 v8, v8, v37, -v12
	global_store_b64 v[9:10], v[13:14], off offset:-4
	v_add_co_u32 v9, vcc_lo, v9, s74
	v_add_co_ci_u32_e32 v10, vcc_lo, s75, v10, vcc_lo
	s_cbranch_scc0 .LBB15_97
	s_branch .LBB15_95
.LBB15_98:
	s_nop 0
	s_sendmsg sendmsg(MSG_DEALLOC_VGPRS)
	s_endpgm
	.section	.rodata,"a",@progbits
	.p2align	6, 0x0
	.amdhsa_kernel _ZN9rocsolver6v33100L11lasr_kernelI19rocblas_complex_numIfEfPS3_iEEv13rocblas_side_14rocblas_pivot_15rocblas_direct_T2_S8_PT0_lSA_lT1_lS8_lS8_
		.amdhsa_group_segment_fixed_size 0
		.amdhsa_private_segment_fixed_size 0
		.amdhsa_kernarg_size 352
		.amdhsa_user_sgpr_count 14
		.amdhsa_user_sgpr_dispatch_ptr 0
		.amdhsa_user_sgpr_queue_ptr 0
		.amdhsa_user_sgpr_kernarg_segment_ptr 1
		.amdhsa_user_sgpr_dispatch_id 0
		.amdhsa_user_sgpr_private_segment_size 0
		.amdhsa_wavefront_size32 1
		.amdhsa_uses_dynamic_stack 0
		.amdhsa_enable_private_segment 0
		.amdhsa_system_sgpr_workgroup_id_x 1
		.amdhsa_system_sgpr_workgroup_id_y 0
		.amdhsa_system_sgpr_workgroup_id_z 1
		.amdhsa_system_sgpr_workgroup_info 0
		.amdhsa_system_vgpr_workitem_id 0
		.amdhsa_next_free_vgpr 47
		.amdhsa_next_free_sgpr 87
		.amdhsa_reserve_vcc 1
		.amdhsa_float_round_mode_32 0
		.amdhsa_float_round_mode_16_64 0
		.amdhsa_float_denorm_mode_32 3
		.amdhsa_float_denorm_mode_16_64 3
		.amdhsa_dx10_clamp 1
		.amdhsa_ieee_mode 1
		.amdhsa_fp16_overflow 0
		.amdhsa_workgroup_processor_mode 1
		.amdhsa_memory_ordered 1
		.amdhsa_forward_progress 0
		.amdhsa_shared_vgpr_count 0
		.amdhsa_exception_fp_ieee_invalid_op 0
		.amdhsa_exception_fp_denorm_src 0
		.amdhsa_exception_fp_ieee_div_zero 0
		.amdhsa_exception_fp_ieee_overflow 0
		.amdhsa_exception_fp_ieee_underflow 0
		.amdhsa_exception_fp_ieee_inexact 0
		.amdhsa_exception_int_div_zero 0
	.end_amdhsa_kernel
	.section	.text._ZN9rocsolver6v33100L11lasr_kernelI19rocblas_complex_numIfEfPS3_iEEv13rocblas_side_14rocblas_pivot_15rocblas_direct_T2_S8_PT0_lSA_lT1_lS8_lS8_,"axG",@progbits,_ZN9rocsolver6v33100L11lasr_kernelI19rocblas_complex_numIfEfPS3_iEEv13rocblas_side_14rocblas_pivot_15rocblas_direct_T2_S8_PT0_lSA_lT1_lS8_lS8_,comdat
.Lfunc_end15:
	.size	_ZN9rocsolver6v33100L11lasr_kernelI19rocblas_complex_numIfEfPS3_iEEv13rocblas_side_14rocblas_pivot_15rocblas_direct_T2_S8_PT0_lSA_lT1_lS8_lS8_, .Lfunc_end15-_ZN9rocsolver6v33100L11lasr_kernelI19rocblas_complex_numIfEfPS3_iEEv13rocblas_side_14rocblas_pivot_15rocblas_direct_T2_S8_PT0_lSA_lT1_lS8_lS8_
                                        ; -- End function
	.section	.AMDGPU.csdata,"",@progbits
; Kernel info:
; codeLenInByte = 5072
; NumSgprs: 89
; NumVgprs: 47
; ScratchSize: 0
; MemoryBound: 0
; FloatMode: 240
; IeeeMode: 1
; LDSByteSize: 0 bytes/workgroup (compile time only)
; SGPRBlocks: 11
; VGPRBlocks: 5
; NumSGPRsForWavesPerEU: 89
; NumVGPRsForWavesPerEU: 47
; Occupancy: 16
; WaveLimiterHint : 0
; COMPUTE_PGM_RSRC2:SCRATCH_EN: 0
; COMPUTE_PGM_RSRC2:USER_SGPR: 14
; COMPUTE_PGM_RSRC2:TRAP_HANDLER: 0
; COMPUTE_PGM_RSRC2:TGID_X_EN: 1
; COMPUTE_PGM_RSRC2:TGID_Y_EN: 0
; COMPUTE_PGM_RSRC2:TGID_Z_EN: 1
; COMPUTE_PGM_RSRC2:TIDIG_COMP_CNT: 0
	.section	.text._ZN9rocsolver6v33100L11swap_kernelI19rocblas_complex_numIfEiEEvT0_PT_S4_S6_S4_,"axG",@progbits,_ZN9rocsolver6v33100L11swap_kernelI19rocblas_complex_numIfEiEEvT0_PT_S4_S6_S4_,comdat
	.globl	_ZN9rocsolver6v33100L11swap_kernelI19rocblas_complex_numIfEiEEvT0_PT_S4_S6_S4_ ; -- Begin function _ZN9rocsolver6v33100L11swap_kernelI19rocblas_complex_numIfEiEEvT0_PT_S4_S6_S4_
	.p2align	8
	.type	_ZN9rocsolver6v33100L11swap_kernelI19rocblas_complex_numIfEiEEvT0_PT_S4_S6_S4_,@function
_ZN9rocsolver6v33100L11swap_kernelI19rocblas_complex_numIfEiEEvT0_PT_S4_S6_S4_: ; @_ZN9rocsolver6v33100L11swap_kernelI19rocblas_complex_numIfEiEEvT0_PT_S4_S6_S4_
; %bb.0:
	s_load_b32 s12, s[0:1], 0x0
	s_waitcnt lgkmcnt(0)
	s_cmp_lt_i32 s12, 1
	s_cbranch_scc1 .LBB16_10
; %bb.1:
	s_clause 0x5
	s_load_b32 s6, s[0:1], 0x34
	s_load_b32 s8, s[0:1], 0x10
	;; [unrolled: 1-line block ×4, first 2 shown]
	s_load_b64 s[2:3], s[0:1], 0x8
	s_load_b64 s[4:5], s[0:1], 0x18
	s_waitcnt lgkmcnt(0)
	s_and_b32 s0, s6, 0xffff
	s_cmp_eq_u32 s8, 1
	v_mad_u64_u32 v[1:2], null, s15, s0, v[0:1]
	s_cselect_b32 s1, -1, 0
	s_cmp_eq_u32 s9, 1
	s_mul_i32 s6, s7, s0
	s_cselect_b32 s10, -1, 0
	s_delay_alu instid0(SALU_CYCLE_1) | instskip(NEXT) | instid1(VALU_DEP_1)
	s_and_b32 s1, s1, s10
	v_cmp_gt_i32_e64 s0, s12, v1
	s_and_b32 vcc_lo, exec_lo, s1
	s_mov_b32 s1, -1
	s_cbranch_vccnz .LBB16_6
; %bb.2:
	s_delay_alu instid0(VALU_DEP_1)
	s_and_saveexec_b32 s7, s0
	s_cbranch_execz .LBB16_5
; %bb.3:
	v_mad_i64_i32 v[2:3], null, s9, v1, 0
	v_mad_i64_i32 v[4:5], null, s8, v1, 0
	v_mov_b32_e32 v0, v1
	s_mul_hi_i32 s11, s9, s6
	s_mul_i32 s10, s9, s6
	s_mul_hi_i32 s15, s8, s6
	s_delay_alu instid0(VALU_DEP_3) | instskip(SKIP_1) | instid1(VALU_DEP_3)
	v_lshlrev_b64 v[2:3], 3, v[2:3]
	s_mul_i32 s14, s8, s6
	v_lshlrev_b64 v[4:5], 3, v[4:5]
	s_lshl_b64 s[8:9], s[10:11], 3
	s_lshl_b64 s[10:11], s[14:15], 3
	s_mov_b32 s13, 0
	v_add_co_u32 v2, vcc_lo, s4, v2
	v_add_co_ci_u32_e32 v3, vcc_lo, s5, v3, vcc_lo
	v_add_co_u32 v4, vcc_lo, s2, v4
	v_add_co_ci_u32_e32 v5, vcc_lo, s3, v5, vcc_lo
	.p2align	6
.LBB16_4:                               ; =>This Inner Loop Header: Depth=1
	global_load_b64 v[6:7], v[4:5], off
	global_load_b64 v[8:9], v[2:3], off
	v_add_nc_u32_e32 v0, s6, v0
	s_waitcnt vmcnt(1)
	global_store_b64 v[2:3], v[6:7], off
	s_waitcnt vmcnt(0)
	global_store_b64 v[4:5], v[8:9], off
	v_add_co_u32 v2, s1, v2, s8
	s_delay_alu instid0(VALU_DEP_1) | instskip(SKIP_2) | instid1(VALU_DEP_1)
	v_add_co_ci_u32_e64 v3, s1, s9, v3, s1
	v_cmp_le_i32_e32 vcc_lo, s12, v0
	v_add_co_u32 v4, s1, v4, s10
	v_add_co_ci_u32_e64 v5, s1, s11, v5, s1
	s_or_b32 s13, vcc_lo, s13
	s_delay_alu instid0(SALU_CYCLE_1)
	s_and_not1_b32 exec_lo, exec_lo, s13
	s_cbranch_execnz .LBB16_4
.LBB16_5:
	s_or_b32 exec_lo, exec_lo, s7
	s_mov_b32 s1, 0
.LBB16_6:
	s_delay_alu instid0(SALU_CYCLE_1)
	s_and_not1_b32 vcc_lo, exec_lo, s1
	s_cbranch_vccnz .LBB16_10
; %bb.7:
	s_and_saveexec_b32 s1, s0
	s_cbranch_execz .LBB16_10
; %bb.8:
	v_ashrrev_i32_e32 v2, 31, v1
	s_ashr_i32 s7, s6, 31
	s_mov_b32 s1, 0
	s_lshl_b64 s[8:9], s[6:7], 3
	s_delay_alu instid0(VALU_DEP_1)
	v_lshlrev_b64 v[2:3], 3, v[1:2]
	.p2align	6
.LBB16_9:                               ; =>This Inner Loop Header: Depth=1
	s_delay_alu instid0(VALU_DEP_1) | instskip(NEXT) | instid1(VALU_DEP_2)
	v_add_co_u32 v4, vcc_lo, s2, v2
	v_add_co_ci_u32_e32 v5, vcc_lo, s3, v3, vcc_lo
	v_add_co_u32 v6, vcc_lo, s4, v2
	v_add_co_ci_u32_e32 v7, vcc_lo, s5, v3, vcc_lo
	v_add_nc_u32_e32 v1, s6, v1
	global_load_b64 v[8:9], v[4:5], off
	global_load_b64 v[10:11], v[6:7], off
	v_add_co_u32 v2, s0, v2, s8
	v_cmp_le_i32_e32 vcc_lo, s12, v1
	v_add_co_ci_u32_e64 v3, s0, s9, v3, s0
	s_waitcnt vmcnt(1)
	global_store_b64 v[6:7], v[8:9], off
	s_waitcnt vmcnt(0)
	global_store_b64 v[4:5], v[10:11], off
	s_or_b32 s1, vcc_lo, s1
	s_delay_alu instid0(SALU_CYCLE_1)
	s_and_not1_b32 exec_lo, exec_lo, s1
	s_cbranch_execnz .LBB16_9
.LBB16_10:
	s_nop 0
	s_sendmsg sendmsg(MSG_DEALLOC_VGPRS)
	s_endpgm
	.section	.rodata,"a",@progbits
	.p2align	6, 0x0
	.amdhsa_kernel _ZN9rocsolver6v33100L11swap_kernelI19rocblas_complex_numIfEiEEvT0_PT_S4_S6_S4_
		.amdhsa_group_segment_fixed_size 0
		.amdhsa_private_segment_fixed_size 0
		.amdhsa_kernarg_size 296
		.amdhsa_user_sgpr_count 15
		.amdhsa_user_sgpr_dispatch_ptr 0
		.amdhsa_user_sgpr_queue_ptr 0
		.amdhsa_user_sgpr_kernarg_segment_ptr 1
		.amdhsa_user_sgpr_dispatch_id 0
		.amdhsa_user_sgpr_private_segment_size 0
		.amdhsa_wavefront_size32 1
		.amdhsa_uses_dynamic_stack 0
		.amdhsa_enable_private_segment 0
		.amdhsa_system_sgpr_workgroup_id_x 1
		.amdhsa_system_sgpr_workgroup_id_y 0
		.amdhsa_system_sgpr_workgroup_id_z 0
		.amdhsa_system_sgpr_workgroup_info 0
		.amdhsa_system_vgpr_workitem_id 0
		.amdhsa_next_free_vgpr 12
		.amdhsa_next_free_sgpr 16
		.amdhsa_reserve_vcc 1
		.amdhsa_float_round_mode_32 0
		.amdhsa_float_round_mode_16_64 0
		.amdhsa_float_denorm_mode_32 3
		.amdhsa_float_denorm_mode_16_64 3
		.amdhsa_dx10_clamp 1
		.amdhsa_ieee_mode 1
		.amdhsa_fp16_overflow 0
		.amdhsa_workgroup_processor_mode 1
		.amdhsa_memory_ordered 1
		.amdhsa_forward_progress 0
		.amdhsa_shared_vgpr_count 0
		.amdhsa_exception_fp_ieee_invalid_op 0
		.amdhsa_exception_fp_denorm_src 0
		.amdhsa_exception_fp_ieee_div_zero 0
		.amdhsa_exception_fp_ieee_overflow 0
		.amdhsa_exception_fp_ieee_underflow 0
		.amdhsa_exception_fp_ieee_inexact 0
		.amdhsa_exception_int_div_zero 0
	.end_amdhsa_kernel
	.section	.text._ZN9rocsolver6v33100L11swap_kernelI19rocblas_complex_numIfEiEEvT0_PT_S4_S6_S4_,"axG",@progbits,_ZN9rocsolver6v33100L11swap_kernelI19rocblas_complex_numIfEiEEvT0_PT_S4_S6_S4_,comdat
.Lfunc_end16:
	.size	_ZN9rocsolver6v33100L11swap_kernelI19rocblas_complex_numIfEiEEvT0_PT_S4_S6_S4_, .Lfunc_end16-_ZN9rocsolver6v33100L11swap_kernelI19rocblas_complex_numIfEiEEvT0_PT_S4_S6_S4_
                                        ; -- End function
	.section	.AMDGPU.csdata,"",@progbits
; Kernel info:
; codeLenInByte = 520
; NumSgprs: 18
; NumVgprs: 12
; ScratchSize: 0
; MemoryBound: 0
; FloatMode: 240
; IeeeMode: 1
; LDSByteSize: 0 bytes/workgroup (compile time only)
; SGPRBlocks: 2
; VGPRBlocks: 1
; NumSGPRsForWavesPerEU: 18
; NumVGPRsForWavesPerEU: 12
; Occupancy: 16
; WaveLimiterHint : 0
; COMPUTE_PGM_RSRC2:SCRATCH_EN: 0
; COMPUTE_PGM_RSRC2:USER_SGPR: 15
; COMPUTE_PGM_RSRC2:TRAP_HANDLER: 0
; COMPUTE_PGM_RSRC2:TGID_X_EN: 1
; COMPUTE_PGM_RSRC2:TGID_Y_EN: 0
; COMPUTE_PGM_RSRC2:TGID_Z_EN: 0
; COMPUTE_PGM_RSRC2:TIDIG_COMP_CNT: 0
	.section	.text._ZN9rocsolver6v33100L12steqr_kernelI19rocblas_complex_numIfEfPS3_EEviPT0_lS6_lT1_iilPiS6_iS5_S5_S5_,"axG",@progbits,_ZN9rocsolver6v33100L12steqr_kernelI19rocblas_complex_numIfEfPS3_EEviPT0_lS6_lT1_iilPiS6_iS5_S5_S5_,comdat
	.globl	_ZN9rocsolver6v33100L12steqr_kernelI19rocblas_complex_numIfEfPS3_EEviPT0_lS6_lT1_iilPiS6_iS5_S5_S5_ ; -- Begin function _ZN9rocsolver6v33100L12steqr_kernelI19rocblas_complex_numIfEfPS3_EEviPT0_lS6_lT1_iilPiS6_iS5_S5_S5_
	.p2align	8
	.type	_ZN9rocsolver6v33100L12steqr_kernelI19rocblas_complex_numIfEfPS3_EEviPT0_lS6_lT1_iilPiS6_iS5_S5_S5_,@function
_ZN9rocsolver6v33100L12steqr_kernelI19rocblas_complex_numIfEfPS3_EEviPT0_lS6_lT1_iilPiS6_iS5_S5_S5_: ; @_ZN9rocsolver6v33100L12steqr_kernelI19rocblas_complex_numIfEfPS3_EEviPT0_lS6_lT1_iilPiS6_iS5_S5_S5_
; %bb.0:
	s_clause 0x1
	s_load_b32 s2, s[0:1], 0x6c
	s_load_b32 s3, s[0:1], 0x60
	s_mov_b32 s28, s15
	s_waitcnt lgkmcnt(0)
	s_and_b32 s7, s2, 0xffff
	s_delay_alu instid0(SALU_CYCLE_1) | instskip(NEXT) | instid1(VALU_DEP_1)
	v_mad_u64_u32 v[1:2], null, s14, s7, v[0:1]
	v_cmp_eq_u32_e64 s2, 0, v1
	s_delay_alu instid0(VALU_DEP_1)
	s_and_saveexec_b32 s4, s2
	s_cbranch_execz .LBB17_2
; %bb.1:
	v_mov_b32_e32 v0, 0
	ds_store_2addr_b32 v0, v0, v0 offset0:3 offset1:7
.LBB17_2:
	s_or_b32 exec_lo, exec_lo, s4
	s_load_b256 s[16:23], s[0:1], 0x8
	v_mov_b32_e32 v0, 0
	s_load_b32 s6, s[0:1], 0x0
	s_waitcnt lgkmcnt(0)
	s_barrier
	buffer_gl0_inv
	ds_load_2addr_b32 v[2:3], v0 offset0:3 offset1:7
	s_clause 0x2
	s_load_b128 s[24:27], s[0:1], 0x50
	s_load_b256 s[8:15], s[0:1], 0x28
	s_load_b64 s[4:5], s[0:1], 0x48
	s_ashr_i32 s29, s28, 31
	s_mul_i32 s30, s3, s7
	s_mul_i32 s0, s28, s19
	s_mul_hi_u32 s1, s28, s18
	s_mul_i32 s3, s29, s18
	s_add_i32 s0, s1, s0
	s_mul_i32 s18, s28, s18
	s_add_i32 s19, s0, s3
	s_mul_i32 s7, s28, s23
	s_mul_hi_u32 s31, s28, s22
	s_mul_i32 s33, s29, s22
	s_mul_i32 s38, s28, s22
	s_lshl_b64 s[22:23], s[18:19], 2
	s_waitcnt lgkmcnt(0)
	v_cmp_gt_i32_e32 vcc_lo, s6, v2
	v_cmp_gt_i32_e64 s0, s24, v3
	s_add_u32 s18, s16, s22
	s_addc_u32 s19, s17, s23
	s_add_i32 s3, s31, s7
	s_mul_i32 s1, s28, s13
	s_add_i32 s39, s3, s33
	s_mul_hi_u32 s3, s28, s12
	v_readfirstlane_b32 s58, v2
	s_and_b32 s0, vcc_lo, s0
	s_add_i32 s1, s3, s1
	s_mul_i32 s3, s29, s12
	s_ashr_i32 s35, s10, 31
	s_mov_b32 s34, s10
	s_add_i32 s13, s1, s3
	s_mul_i32 s12, s28, s12
	s_and_not1_b32 vcc_lo, exec_lo, s0
	s_add_i32 s36, s6, -1
	s_cbranch_vccnz .LBB17_224
; %bb.3:
	s_lshl_b64 s[0:1], s[38:39], 2
	s_lshl_b32 s3, s6, 1
	s_add_u32 s10, s20, s0
	s_addc_u32 s33, s21, s1
	s_lshl_b64 s[0:1], s[12:13], 3
	s_lshl_b64 s[40:41], s[34:35], 3
	v_ashrrev_i32_e32 v2, 31, v1
	s_add_u32 s0, s0, s40
	s_addc_u32 s7, s1, s41
	s_add_u32 s70, s8, s0
	s_mul_hi_i32 s1, s3, s28
	s_mul_i32 s0, s3, s28
	s_addc_u32 s71, s9, s7
	s_lshl_b64 s[50:51], s[0:1], 2
	v_lshlrev_b64 v[2:3], 3, v[1:2]
	s_add_u32 s72, s4, s50
	s_addc_u32 s73, s5, s51
	s_ashr_i32 s7, s6, 31
	s_ashr_i32 s41, s11, 31
	s_add_u32 s42, s10, -4
	s_addc_u32 s43, s33, -1
	s_add_u32 s44, s72, -4
	s_addc_u32 s45, s73, -1
	s_add_u32 s74, s16, s22
	s_addc_u32 s75, s17, s23
	s_add_u32 s76, s74, 4
	s_addc_u32 s77, s75, 0
	s_ashr_i32 s31, s30, 31
	s_lshl_b64 s[46:47], s[6:7], 2
	s_lshl_b64 s[48:49], s[30:31], 2
	s_add_u32 s1, s50, s46
	s_addc_u32 s3, s51, s47
	s_add_u32 s1, s1, s4
	v_add_co_u32 v2, vcc_lo, s70, v2
	s_addc_u32 s3, s3, s5
	s_add_u32 s50, s1, -8
	v_add_co_ci_u32_e32 v3, vcc_lo, s71, v3, vcc_lo
	s_mov_b32 s40, s11
	s_addc_u32 s51, s3, -1
	s_add_u32 s7, s46, -4
	s_addc_u32 s78, s47, -1
	v_add_co_u32 v38, vcc_lo, v2, 4
	s_lshl_b64 s[52:53], s[40:41], 3
	s_lshl_b64 s[54:55], s[30:31], 3
	v_mul_f32_e64 v37, s25, s25
	v_cmp_gt_i32_e64 s0, s6, v1
	v_add_co_ci_u32_e32 v39, vcc_lo, 0, v3, vcc_lo
	s_sub_u32 s31, 0, s52
	s_subb_u32 s79, 0, s53
	s_mov_b32 s56, 0x667f3bcd
	s_add_u32 s80, s74, -4
	s_mov_b32 s57, 0x3ff6a09e
	s_addc_u32 s81, s75, -1
	s_mov_b32 s5, 0
                                        ; implicit-def: $vgpr6_vgpr7
                                        ; implicit-def: $vgpr8_vgpr9
                                        ; implicit-def: $vgpr10_vgpr11
                                        ; implicit-def: $vgpr2_vgpr3
                                        ; implicit-def: $vgpr40
                                        ; implicit-def: $vgpr4_vgpr5
                                        ; implicit-def: $vgpr41
                                        ; implicit-def: $vgpr12_vgpr13
                                        ; implicit-def: $vgpr14_vgpr15
	s_branch .LBB17_7
.LBB17_4:                               ;   in Loop: Header=BB17_7 Depth=1
	s_or_b32 exec_lo, exec_lo, s3
.LBB17_5:                               ;   in Loop: Header=BB17_7 Depth=1
	s_waitcnt_vscnt null, 0x0
	s_barrier
	buffer_gl0_inv
.LBB17_6:                               ;   in Loop: Header=BB17_7 Depth=1
	ds_load_2addr_b32 v[12:13], v0 offset0:3 offset1:7
	v_dual_mov_b32 v41, v17 :: v_dual_mov_b32 v14, v22
	v_mov_b32_e32 v15, v23
	s_waitcnt lgkmcnt(0)
	v_cmp_gt_i32_e32 vcc_lo, s6, v12
	v_cmp_gt_i32_e64 s1, s24, v13
	v_readfirstlane_b32 s58, v12
	v_dual_mov_b32 v12, v20 :: v_dual_mov_b32 v13, v21
	s_delay_alu instid0(VALU_DEP_3) | instskip(NEXT) | instid1(SALU_CYCLE_1)
	s_and_b32 s1, vcc_lo, s1
	s_and_not1_b32 vcc_lo, exec_lo, s1
	s_cbranch_vccnz .LBB17_224
.LBB17_7:                               ; =>This Loop Header: Depth=1
                                        ;     Child Loop BB17_15 Depth 2
                                        ;     Child Loop BB17_28 Depth 2
	;; [unrolled: 1-line block ×5, first 2 shown]
                                        ;       Child Loop BB17_61 Depth 3
                                        ;       Child Loop BB17_80 Depth 3
	;; [unrolled: 1-line block ×3, first 2 shown]
                                        ;         Child Loop BB17_127 Depth 4
                                        ;     Child Loop BB17_133 Depth 2
                                        ;       Child Loop BB17_142 Depth 3
                                        ;       Child Loop BB17_161 Depth 3
	;; [unrolled: 1-line block ×3, first 2 shown]
                                        ;         Child Loop BB17_208 Depth 4
                                        ;     Child Loop BB17_216 Depth 2
                                        ;     Child Loop BB17_223 Depth 2
	s_and_saveexec_b32 s4, s2
	s_cbranch_execz .LBB17_31
; %bb.8:                                ;   in Loop: Header=BB17_7 Depth=1
	s_cmp_lt_i32 s58, 1
	s_cbranch_scc1 .LBB17_10
; %bb.9:                                ;   in Loop: Header=BB17_7 Depth=1
	s_mov_b32 s59, s5
	s_delay_alu instid0(SALU_CYCLE_1) | instskip(NEXT) | instid1(SALU_CYCLE_1)
	s_lshl_b64 s[60:61], s[58:59], 2
	s_add_u32 s60, s42, s60
	s_addc_u32 s61, s43, s61
	global_store_b32 v0, v0, s[60:61]
.LBB17_10:                              ;   in Loop: Header=BB17_7 Depth=1
	s_mov_b32 s3, -1
	s_mov_b32 s1, 0
	s_cmp_lt_i32 s58, s36
	s_mov_b32 s82, 0
	s_cbranch_scc1 .LBB17_12
; %bb.11:                               ;   in Loop: Header=BB17_7 Depth=1
	s_ashr_i32 s59, s58, 31
	s_mov_b32 s3, 0
	s_mov_b32 s82, -1
.LBB17_12:                              ;   in Loop: Header=BB17_7 Depth=1
	s_and_not1_b32 vcc_lo, exec_lo, s3
	s_cbranch_vccnz .LBB17_17
; %bb.13:                               ;   in Loop: Header=BB17_7 Depth=1
	s_ashr_i32 s59, s58, 31
	s_delay_alu instid0(SALU_CYCLE_1)
	s_lshl_b64 s[60:61], s[58:59], 2
	s_mov_b64 s[64:65], s[58:59]
	s_add_u32 s68, s10, s60
	s_addc_u32 s69, s33, s61
	s_add_u32 s62, s76, s60
	s_addc_u32 s63, s77, s61
	s_branch .LBB17_15
.LBB17_14:                              ;   in Loop: Header=BB17_15 Depth=2
	s_and_not1_b32 vcc_lo, exec_lo, s3
	s_cbranch_vccz .LBB17_18
.LBB17_15:                              ;   Parent Loop BB17_7 Depth=1
                                        ; =>  This Inner Loop Header: Depth=2
	s_clause 0x1
	global_load_b64 v[6:7], v0, s[62:63] offset:-4
	global_load_b32 v8, v0, s[68:69]
	s_mov_b64 s[60:61], s[68:69]
	s_mov_b64 s[66:67], s[64:65]
                                        ; implicit-def: $sgpr64_sgpr65
                                        ; implicit-def: $sgpr68_sgpr69
	s_waitcnt vmcnt(1)
	v_mul_f32_e64 v9, 0x4f800000, |v6|
	v_cmp_gt_f32_e64 vcc_lo, 0xf800000, |v6|
	v_mul_f32_e64 v10, 0x4f800000, |v7|
	v_cmp_gt_f32_e64 s1, 0xf800000, |v7|
	s_delay_alu instid0(VALU_DEP_3) | instskip(NEXT) | instid1(VALU_DEP_2)
	v_cndmask_b32_e64 v6, |v6|, v9, vcc_lo
	v_cndmask_b32_e64 v7, |v7|, v10, s1
	s_delay_alu instid0(VALU_DEP_2) | instskip(NEXT) | instid1(VALU_DEP_1)
	v_sqrt_f32_e32 v9, v6
	v_sqrt_f32_e32 v10, v7
	s_waitcnt_depctr 0xfff
	v_add_nc_u32_e32 v11, -1, v9
	v_add_nc_u32_e32 v17, 1, v9
	v_add_nc_u32_e32 v16, -1, v10
	v_add_nc_u32_e32 v18, 1, v10
	s_delay_alu instid0(VALU_DEP_4) | instskip(NEXT) | instid1(VALU_DEP_4)
	v_fma_f32 v19, -v11, v9, v6
	v_fma_f32 v21, -v17, v9, v6
	s_delay_alu instid0(VALU_DEP_4) | instskip(NEXT) | instid1(VALU_DEP_4)
	v_fma_f32 v20, -v16, v10, v7
	v_fma_f32 v22, -v18, v10, v7
	s_delay_alu instid0(VALU_DEP_4) | instskip(NEXT) | instid1(VALU_DEP_1)
	v_cmp_ge_f32_e64 s3, 0, v19
	v_cndmask_b32_e64 v9, v9, v11, s3
	s_delay_alu instid0(VALU_DEP_4) | instskip(NEXT) | instid1(VALU_DEP_1)
	v_cmp_ge_f32_e64 s3, 0, v20
	v_cndmask_b32_e64 v10, v10, v16, s3
	v_cmp_lt_f32_e64 s3, 0, v21
	s_delay_alu instid0(VALU_DEP_1) | instskip(SKIP_1) | instid1(VALU_DEP_2)
	v_cndmask_b32_e64 v9, v9, v17, s3
	v_cmp_lt_f32_e64 s3, 0, v22
	v_mul_f32_e32 v11, 0x37800000, v9
	s_delay_alu instid0(VALU_DEP_1) | instskip(NEXT) | instid1(VALU_DEP_3)
	v_cndmask_b32_e32 v9, v9, v11, vcc_lo
	v_cndmask_b32_e64 v10, v10, v18, s3
	v_cmp_class_f32_e64 vcc_lo, v6, 0x260
	s_delay_alu instid0(VALU_DEP_2) | instskip(NEXT) | instid1(VALU_DEP_4)
	v_mul_f32_e32 v16, 0x37800000, v10
	v_cndmask_b32_e32 v6, v9, v6, vcc_lo
	v_cmp_class_f32_e64 vcc_lo, v7, 0x260
	s_delay_alu instid0(VALU_DEP_3) | instskip(SKIP_1) | instid1(VALU_DEP_1)
	v_cndmask_b32_e64 v10, v10, v16, s1
	s_mov_b32 s1, -1
	v_cndmask_b32_e32 v7, v10, v7, vcc_lo
	s_delay_alu instid0(VALU_DEP_1) | instskip(NEXT) | instid1(VALU_DEP_1)
	v_mul_f32_e32 v6, v6, v7
	v_mul_f32_e32 v6, s25, v6
	s_waitcnt vmcnt(0)
	s_delay_alu instid0(VALU_DEP_1) | instskip(NEXT) | instid1(VALU_DEP_1)
	v_cmp_nle_f32_e64 s3, |v8|, v6
	s_and_b32 vcc_lo, exec_lo, s3
	s_mov_b32 s3, -1
	s_cbranch_vccz .LBB17_14
; %bb.16:                               ;   in Loop: Header=BB17_15 Depth=2
	s_add_u32 s64, s66, 1
	s_addc_u32 s65, s67, 0
	s_add_u32 s68, s60, 4
	s_addc_u32 s69, s61, 0
	;; [unrolled: 2-line block ×3, first 2 shown]
	s_cmp_ge_i32 s64, s36
	s_mov_b32 s1, 0
	s_cselect_b32 s3, -1, 0
	s_branch .LBB17_14
.LBB17_17:                              ;   in Loop: Header=BB17_7 Depth=1
	s_mov_b32 s3, s58
	s_mov_b64 s[62:63], s[58:59]
	s_and_b32 vcc_lo, exec_lo, s82
	s_cbranch_vccnz .LBB17_21
	s_branch .LBB17_22
.LBB17_18:                              ;   in Loop: Header=BB17_7 Depth=1
	s_xor_b32 s1, s1, -1
                                        ; implicit-def: $sgpr62_sgpr63
	s_delay_alu instid0(SALU_CYCLE_1)
	s_and_b32 vcc_lo, exec_lo, s1
	s_mov_b32 s1, -1
	s_cbranch_vccz .LBB17_20
; %bb.19:                               ;   in Loop: Header=BB17_7 Depth=1
	s_ashr_i32 s37, s36, 31
	s_mov_b32 s82, -1
	s_mov_b32 s1, 0
	s_mov_b64 s[62:63], s[36:37]
.LBB17_20:                              ;   in Loop: Header=BB17_7 Depth=1
	v_dual_mov_b32 v6, s66 :: v_dual_mov_b32 v7, s67
	v_dual_mov_b32 v8, s60 :: v_dual_mov_b32 v9, s61
	;; [unrolled: 1-line block ×3, first 2 shown]
	s_mov_b32 s3, s36
	s_and_b32 vcc_lo, exec_lo, s82
	s_cbranch_vccz .LBB17_22
.LBB17_21:                              ;   in Loop: Header=BB17_7 Depth=1
	v_mov_b32_e32 v16, s3
	ds_store_b32 v0, v16 offset:4
.LBB17_22:                              ;   in Loop: Header=BB17_7 Depth=1
	v_dual_mov_b32 v16, s58 :: v_dual_mov_b32 v17, s59
	v_dual_mov_b32 v18, s62 :: v_dual_mov_b32 v19, s63
	v_mov_b32_e32 v20, s3
	s_and_not1_b32 vcc_lo, exec_lo, s1
	s_cbranch_vccnz .LBB17_24
; %bb.23:                               ;   in Loop: Header=BB17_7 Depth=1
	v_dual_mov_b32 v17, v11 :: v_dual_mov_b32 v16, v10
	v_dual_mov_b32 v19, v7 :: v_dual_mov_b32 v18, v6
	v_mov_b32_e32 v20, v6
	ds_store_b32 v0, v6 offset:4
	global_store_b32 v[8:9], v0, off
.LBB17_24:                              ;   in Loop: Header=BB17_7 Depth=1
	s_delay_alu instid0(VALU_DEP_2) | instskip(SKIP_3) | instid1(VALU_DEP_3)
	v_lshlrev_b64 v[21:22], 2, v[18:19]
	v_lshlrev_b64 v[18:19], 2, v[16:17]
	v_mov_b32_e32 v23, s58
	s_mov_b32 s1, exec_lo
	v_add_co_u32 v16, vcc_lo, s18, v21
	s_delay_alu instid0(VALU_DEP_4) | instskip(NEXT) | instid1(VALU_DEP_4)
	v_add_co_ci_u32_e32 v17, vcc_lo, s19, v22, vcc_lo
	v_add_co_u32 v21, vcc_lo, s18, v18
	v_add_co_ci_u32_e32 v22, vcc_lo, s19, v19, vcc_lo
	s_clause 0x1
	global_load_b32 v16, v[16:17], off
	global_load_b32 v17, v[21:22], off
	v_dual_mov_b32 v21, s58 :: v_dual_add_nc_u32 v22, 1, v20
	ds_store_2addr_b32 v0, v21, v20 offset1:5
	ds_store_b32 v0, v20 offset:32
	ds_store_2addr_b32 v0, v22, v23 offset0:3 offset1:4
	s_waitcnt vmcnt(0)
	v_cmpx_lt_f32_e64 |v16|, |v17|
	s_cbranch_execz .LBB17_26
; %bb.25:                               ;   in Loop: Header=BB17_7 Depth=1
	v_mov_b32_e32 v17, s58
	ds_store_2addr_b32 v0, v20, v17 offset1:5
.LBB17_26:                              ;   in Loop: Header=BB17_7 Depth=1
	s_or_b32 exec_lo, exec_lo, s1
	v_and_b32_e32 v21, 0x7fffffff, v16
	s_mov_b32 s3, exec_lo
	v_cmpx_lt_i32_e64 s58, v20
	s_cbranch_execz .LBB17_30
; %bb.27:                               ;   in Loop: Header=BB17_7 Depth=1
	v_add_co_u32 v16, vcc_lo, s74, v18
	v_add_co_ci_u32_e32 v17, vcc_lo, s75, v19, vcc_lo
	v_add_co_u32 v18, vcc_lo, s10, v18
	v_add_co_ci_u32_e32 v19, vcc_lo, s33, v19, vcc_lo
	s_mov_b32 s37, 0
	.p2align	6
.LBB17_28:                              ;   Parent Loop BB17_7 Depth=1
                                        ; =>  This Inner Loop Header: Depth=2
	global_load_b32 v22, v[16:17], off
	global_load_b32 v23, v[18:19], off
	v_add_co_u32 v16, vcc_lo, v16, 4
	s_add_i32 s58, s58, 1
	v_add_co_ci_u32_e32 v17, vcc_lo, 0, v17, vcc_lo
	v_add_co_u32 v18, vcc_lo, v18, 4
	v_cmp_ge_i32_e64 s1, s58, v20
	v_add_co_ci_u32_e32 v19, vcc_lo, 0, v19, vcc_lo
	s_delay_alu instid0(VALU_DEP_2)
	s_or_b32 s37, s1, s37
	s_waitcnt vmcnt(0)
	v_max3_f32 v21, v21, |v22|, |v23|
	s_and_not1_b32 exec_lo, exec_lo, s37
	s_cbranch_execnz .LBB17_28
; %bb.29:                               ;   in Loop: Header=BB17_7 Depth=1
	s_or_b32 exec_lo, exec_lo, s37
.LBB17_30:                              ;   in Loop: Header=BB17_7 Depth=1
	s_delay_alu instid0(SALU_CYCLE_1)
	s_or_b32 exec_lo, exec_lo, s3
	ds_store_b32 v0, v21 offset:24
.LBB17_31:                              ;   in Loop: Header=BB17_7 Depth=1
	s_or_b32 exec_lo, exec_lo, s4
	s_waitcnt lgkmcnt(0)
	s_waitcnt_vscnt null, 0x0
	s_barrier
	buffer_gl0_inv
	ds_load_2addr_b32 v[16:17], v0 offset0:5 offset1:6
	ds_load_b32 v18, v0
	s_waitcnt lgkmcnt(1)
	v_cmp_eq_f32_e64 s1, 0, v17
	s_waitcnt lgkmcnt(0)
	v_cmp_eq_u32_e32 vcc_lo, v16, v18
	s_delay_alu instid0(VALU_DEP_2) | instskip(NEXT) | instid1(SALU_CYCLE_1)
	s_or_b32 s1, vcc_lo, s1
	s_and_b32 vcc_lo, exec_lo, s1
	s_cbranch_vccnz .LBB17_129
; %bb.32:                               ;   in Loop: Header=BB17_7 Depth=1
	v_cmp_nlt_f32_e32 vcc_lo, s27, v17
	s_mov_b32 s1, -1
	s_cbranch_vccz .LBB17_41
; %bb.33:                               ;   in Loop: Header=BB17_7 Depth=1
	v_cmp_ngt_f32_e32 vcc_lo, s26, v17
	s_cbranch_vccnz .LBB17_40
; %bb.34:                               ;   in Loop: Header=BB17_7 Depth=1
	v_div_scale_f32 v16, null, s26, s26, v17
	v_div_scale_f32 v21, vcc_lo, v17, s26, v17
	s_delay_alu instid0(VALU_DEP_2) | instskip(SKIP_2) | instid1(VALU_DEP_1)
	v_rcp_f32_e32 v20, v16
	s_waitcnt_depctr 0xfff
	v_fma_f32 v18, -v16, v20, 1.0
	v_fmac_f32_e32 v20, v18, v20
	ds_load_2addr_b32 v[18:19], v0 offset0:4 offset1:8
	v_mul_f32_e32 v22, v21, v20
	s_delay_alu instid0(VALU_DEP_1) | instskip(NEXT) | instid1(VALU_DEP_1)
	v_fma_f32 v23, -v16, v22, v21
	v_fmac_f32_e32 v22, v23, v20
	s_delay_alu instid0(VALU_DEP_1) | instskip(NEXT) | instid1(VALU_DEP_1)
	v_fma_f32 v16, -v16, v22, v21
	v_div_fmas_f32 v16, v16, v20, v22
	s_delay_alu instid0(VALU_DEP_1)
	v_div_fixup_f32 v16, v16, s26, v17
	s_and_saveexec_b32 s1, s2
	s_cbranch_execz .LBB17_36
; %bb.35:                               ;   in Loop: Header=BB17_7 Depth=1
	s_waitcnt lgkmcnt(0)
	v_ashrrev_i32_e32 v21, 31, v19
	v_mov_b32_e32 v20, v19
	s_delay_alu instid0(VALU_DEP_1) | instskip(NEXT) | instid1(VALU_DEP_1)
	v_lshlrev_b64 v[20:21], 2, v[20:21]
	v_add_co_u32 v20, vcc_lo, s18, v20
	s_delay_alu instid0(VALU_DEP_2)
	v_add_co_ci_u32_e32 v21, vcc_lo, s19, v21, vcc_lo
	global_load_b32 v22, v[20:21], off
	s_waitcnt vmcnt(0)
	v_mul_f32_e32 v22, v16, v22
	global_store_b32 v[20:21], v22, off
.LBB17_36:                              ;   in Loop: Header=BB17_7 Depth=1
	s_or_b32 exec_lo, exec_lo, s1
	s_waitcnt lgkmcnt(0)
	v_add_nc_u32_e32 v20, v18, v1
	s_mov_b32 s3, exec_lo
	s_delay_alu instid0(VALU_DEP_1)
	v_cmpx_lt_i32_e64 v20, v19
	s_cbranch_execz .LBB17_39
; %bb.37:                               ;   in Loop: Header=BB17_7 Depth=1
	v_ashrrev_i32_e32 v21, 31, v20
	s_mov_b32 s4, 0
	s_delay_alu instid0(VALU_DEP_1)
	v_lshlrev_b64 v[21:22], 2, v[20:21]
	.p2align	6
.LBB17_38:                              ;   Parent Loop BB17_7 Depth=1
                                        ; =>  This Inner Loop Header: Depth=2
	s_delay_alu instid0(VALU_DEP_1) | instskip(NEXT) | instid1(VALU_DEP_2)
	v_add_co_u32 v23, vcc_lo, s18, v21
	v_add_co_ci_u32_e32 v24, vcc_lo, s19, v22, vcc_lo
	v_add_co_u32 v25, vcc_lo, s10, v21
	v_add_co_ci_u32_e32 v26, vcc_lo, s33, v22, vcc_lo
	global_load_b32 v18, v[23:24], off
	v_add_nc_u32_e32 v20, s30, v20
	v_add_co_u32 v21, vcc_lo, v21, s48
	v_add_co_ci_u32_e32 v22, vcc_lo, s49, v22, vcc_lo
	s_delay_alu instid0(VALU_DEP_3) | instskip(NEXT) | instid1(VALU_DEP_1)
	v_cmp_ge_i32_e64 s1, v20, v19
	s_or_b32 s4, s1, s4
	s_waitcnt vmcnt(0)
	v_mul_f32_e32 v18, v16, v18
	global_store_b32 v[23:24], v18, off
	global_load_b32 v18, v[25:26], off
	s_waitcnt vmcnt(0)
	v_mul_f32_e32 v18, v16, v18
	global_store_b32 v[25:26], v18, off
	s_and_not1_b32 exec_lo, exec_lo, s4
	s_cbranch_execnz .LBB17_38
.LBB17_39:                              ;   in Loop: Header=BB17_7 Depth=1
	s_or_b32 exec_lo, exec_lo, s3
.LBB17_40:                              ;   in Loop: Header=BB17_7 Depth=1
	s_mov_b32 s1, 0
.LBB17_41:                              ;   in Loop: Header=BB17_7 Depth=1
	s_delay_alu instid0(SALU_CYCLE_1)
	s_and_not1_b32 vcc_lo, exec_lo, s1
	s_cbranch_vccnz .LBB17_48
; %bb.42:                               ;   in Loop: Header=BB17_7 Depth=1
	v_div_scale_f32 v16, null, s27, s27, v17
	v_div_scale_f32 v21, vcc_lo, v17, s27, v17
	s_delay_alu instid0(VALU_DEP_2) | instskip(SKIP_2) | instid1(VALU_DEP_1)
	v_rcp_f32_e32 v20, v16
	s_waitcnt_depctr 0xfff
	v_fma_f32 v18, -v16, v20, 1.0
	v_fmac_f32_e32 v20, v18, v20
	ds_load_2addr_b32 v[18:19], v0 offset0:4 offset1:8
	v_mul_f32_e32 v22, v21, v20
	s_delay_alu instid0(VALU_DEP_1) | instskip(NEXT) | instid1(VALU_DEP_1)
	v_fma_f32 v23, -v16, v22, v21
	v_fmac_f32_e32 v22, v23, v20
	s_delay_alu instid0(VALU_DEP_1) | instskip(NEXT) | instid1(VALU_DEP_1)
	v_fma_f32 v16, -v16, v22, v21
	v_div_fmas_f32 v16, v16, v20, v22
	s_delay_alu instid0(VALU_DEP_1)
	v_div_fixup_f32 v20, v16, s27, v17
	s_and_saveexec_b32 s1, s2
	s_cbranch_execz .LBB17_44
; %bb.43:                               ;   in Loop: Header=BB17_7 Depth=1
	s_waitcnt lgkmcnt(0)
	v_ashrrev_i32_e32 v17, 31, v19
	v_mov_b32_e32 v16, v19
	s_delay_alu instid0(VALU_DEP_1) | instskip(NEXT) | instid1(VALU_DEP_1)
	v_lshlrev_b64 v[16:17], 2, v[16:17]
	v_add_co_u32 v16, vcc_lo, s18, v16
	s_delay_alu instid0(VALU_DEP_2)
	v_add_co_ci_u32_e32 v17, vcc_lo, s19, v17, vcc_lo
	global_load_b32 v21, v[16:17], off
	s_waitcnt vmcnt(0)
	v_mul_f32_e32 v21, v20, v21
	global_store_b32 v[16:17], v21, off
.LBB17_44:                              ;   in Loop: Header=BB17_7 Depth=1
	s_or_b32 exec_lo, exec_lo, s1
	s_waitcnt lgkmcnt(0)
	v_add_nc_u32_e32 v16, v18, v1
	s_mov_b32 s3, exec_lo
	s_delay_alu instid0(VALU_DEP_1)
	v_cmpx_lt_i32_e64 v16, v19
	s_cbranch_execz .LBB17_47
; %bb.45:                               ;   in Loop: Header=BB17_7 Depth=1
	v_ashrrev_i32_e32 v17, 31, v16
	s_mov_b32 s4, 0
	s_delay_alu instid0(VALU_DEP_1)
	v_lshlrev_b64 v[17:18], 2, v[16:17]
	.p2align	6
.LBB17_46:                              ;   Parent Loop BB17_7 Depth=1
                                        ; =>  This Inner Loop Header: Depth=2
	s_delay_alu instid0(VALU_DEP_1) | instskip(NEXT) | instid1(VALU_DEP_2)
	v_add_co_u32 v21, vcc_lo, s18, v17
	v_add_co_ci_u32_e32 v22, vcc_lo, s19, v18, vcc_lo
	v_add_co_u32 v23, vcc_lo, s10, v17
	global_load_b32 v24, v[21:22], off
	s_waitcnt vmcnt(0)
	v_mul_f32_e32 v25, v20, v24
	v_add_co_ci_u32_e32 v24, vcc_lo, s33, v18, vcc_lo
	v_add_co_u32 v17, vcc_lo, v17, s48
	global_store_b32 v[21:22], v25, off
	global_load_b32 v21, v[23:24], off
	v_add_nc_u32_e32 v16, s30, v16
	v_add_co_ci_u32_e32 v18, vcc_lo, s49, v18, vcc_lo
	s_waitcnt vmcnt(0)
	v_mul_f32_e32 v21, v20, v21
	s_delay_alu instid0(VALU_DEP_3) | instskip(SKIP_2) | instid1(SALU_CYCLE_1)
	v_cmp_ge_i32_e64 s1, v16, v19
	global_store_b32 v[23:24], v21, off
	s_or_b32 s4, s1, s4
	s_and_not1_b32 exec_lo, exec_lo, s4
	s_cbranch_execnz .LBB17_46
.LBB17_47:                              ;   in Loop: Header=BB17_7 Depth=1
	s_or_b32 exec_lo, exec_lo, s3
.LBB17_48:                              ;   in Loop: Header=BB17_7 Depth=1
	s_waitcnt_vscnt null, 0x0
	s_barrier
	buffer_gl0_inv
	ds_load_b32 v19, v0 offset:28
	ds_load_2addr_b32 v[16:17], v0 offset1:5
	s_waitcnt lgkmcnt(1)
	v_cmp_gt_i32_e64 s1, s24, v19
	s_waitcnt lgkmcnt(0)
	v_cmp_lt_i32_e32 vcc_lo, v17, v16
	v_mov_b32_e32 v18, v17
	s_delay_alu instid0(VALU_DEP_3) | instskip(NEXT) | instid1(VALU_DEP_1)
	v_cndmask_b32_e64 v20, 0, 1, s1
	v_cmp_ne_u32_e64 s3, 1, v20
	s_cbranch_vccnz .LBB17_130
; %bb.49:                               ;   in Loop: Header=BB17_7 Depth=1
	v_dual_mov_b32 v23, v15 :: v_dual_mov_b32 v22, v14
	v_dual_mov_b32 v21, v13 :: v_dual_mov_b32 v20, v12
	;; [unrolled: 1-line block ×4, first 2 shown]
	s_and_b32 vcc_lo, exec_lo, s3
	s_cbranch_vccz .LBB17_53
.LBB17_50:                              ;   in Loop: Header=BB17_7 Depth=1
	s_cbranch_execz .LBB17_133
	s_branch .LBB17_211
.LBB17_51:                              ;   in Loop: Header=BB17_53 Depth=2
	s_or_b32 exec_lo, exec_lo, s37
	s_waitcnt_vscnt null, 0x0
	s_barrier
	buffer_gl0_inv
	ds_load_b32 v24, v0
.LBB17_52:                              ;   in Loop: Header=BB17_53 Depth=2
	ds_load_2addr_b32 v[30:31], v0 offset0:5 offset1:7
	s_waitcnt lgkmcnt(0)
	v_cmp_le_i32_e32 vcc_lo, v24, v30
	v_cmp_gt_i32_e64 s3, s24, v31
	s_delay_alu instid0(VALU_DEP_1) | instskip(NEXT) | instid1(SALU_CYCLE_1)
	s_and_b32 s3, vcc_lo, s3
	s_and_not1_b32 vcc_lo, exec_lo, s3
	s_cbranch_vccnz .LBB17_50
.LBB17_53:                              ;   Parent Loop BB17_7 Depth=1
                                        ; =>  This Loop Header: Depth=2
                                        ;       Child Loop BB17_61 Depth 3
                                        ;       Child Loop BB17_80 Depth 3
	;; [unrolled: 1-line block ×3, first 2 shown]
                                        ;         Child Loop BB17_127 Depth 4
	s_and_saveexec_b32 s37, s2
	s_cbranch_execz .LBB17_122
; %bb.54:                               ;   in Loop: Header=BB17_53 Depth=2
	v_cmp_lt_i32_e32 vcc_lo, v24, v30
	s_mov_b32 s3, 0
	s_cbranch_vccnz .LBB17_58
; %bb.55:                               ;   in Loop: Header=BB17_53 Depth=2
	v_ashrrev_i32_e32 v25, 31, v24
	s_mov_b32 s4, -1
	s_delay_alu instid0(VALU_DEP_1)
	v_mov_b32_e32 v26, v25
	v_mov_b32_e32 v25, v24
	;; [unrolled: 1-line block ×3, first 2 shown]
	s_cbranch_execz .LBB17_59
; %bb.56:                               ;   in Loop: Header=BB17_53 Depth=2
	s_and_b32 vcc_lo, exec_lo, s4
	s_cbranch_vccz .LBB17_64
.LBB17_57:                              ;   in Loop: Header=BB17_53 Depth=2
	ds_store_2addr_b32 v0, v27, v24 offset0:1 offset1:4
	s_cbranch_execz .LBB17_65
	s_branch .LBB17_66
.LBB17_58:                              ;   in Loop: Header=BB17_53 Depth=2
	s_mov_b32 s4, 0
                                        ; implicit-def: $vgpr25_vgpr26
	v_mov_b32_e32 v27, v24
.LBB17_59:                              ;   in Loop: Header=BB17_53 Depth=2
	v_ashrrev_i32_e32 v25, 31, v24
	v_mov_b32_e32 v28, v24
	s_delay_alu instid0(VALU_DEP_2) | instskip(NEXT) | instid1(VALU_DEP_1)
	v_lshlrev_b64 v[20:21], 2, v[24:25]
	v_add_co_u32 v26, vcc_lo, s10, v20
	s_delay_alu instid0(VALU_DEP_2)
	v_add_co_ci_u32_e32 v27, vcc_lo, s33, v21, vcc_lo
	v_add_co_u32 v22, vcc_lo, s74, v20
	v_add_co_ci_u32_e32 v23, vcc_lo, s75, v21, vcc_lo
	s_branch .LBB17_61
	.p2align	6
.LBB17_60:                              ;   in Loop: Header=BB17_61 Depth=3
	s_delay_alu instid0(VALU_DEP_1)
	v_add_nc_u32_e32 v28, 1, v17
	v_add_co_u32 v26, vcc_lo, v20, 4
	v_add_co_ci_u32_e32 v27, vcc_lo, 0, v21, vcc_lo
	v_add_co_u32 v22, vcc_lo, v22, 4
	v_add_co_ci_u32_e32 v23, vcc_lo, 0, v23, vcc_lo
	v_cmp_ge_i32_e64 s4, v28, v30
	s_mov_b32 s3, 0
	s_delay_alu instid0(VALU_DEP_1)
	s_and_not1_b32 vcc_lo, exec_lo, s4
	s_cbranch_vccz .LBB17_63
.LBB17_61:                              ;   Parent Loop BB17_7 Depth=1
                                        ;     Parent Loop BB17_53 Depth=2
                                        ; =>    This Inner Loop Header: Depth=3
	s_delay_alu instid0(VALU_DEP_3) | instskip(SKIP_4) | instid1(VALU_DEP_1)
	v_dual_mov_b32 v20, v26 :: v_dual_mov_b32 v21, v27
	global_load_b64 v[26:27], v[22:23], off
	global_load_b32 v17, v[20:21], off
	s_waitcnt vmcnt(0)
	v_dual_mul_f32 v26, v26, v27 :: v_dual_mul_f32 v17, v17, v17
	v_mul_f32_e64 v26, v37, |v26|
	s_delay_alu instid0(VALU_DEP_1) | instskip(SKIP_1) | instid1(VALU_DEP_2)
	v_cmp_le_f32_e64 s3, |v17|, v26
	v_mov_b32_e32 v17, v28
	s_and_b32 vcc_lo, exec_lo, s3
	s_cbranch_vccz .LBB17_60
; %bb.62:                               ;   in Loop: Header=BB17_53 Depth=2
	s_mov_b32 s3, -1
                                        ; implicit-def: $vgpr28
                                        ; implicit-def: $vgpr26_vgpr27
                                        ; implicit-def: $vgpr22_vgpr23
.LBB17_63:                              ;   in Loop: Header=BB17_53 Depth=2
	v_dual_mov_b32 v22, v24 :: v_dual_mov_b32 v23, v25
	v_dual_mov_b32 v27, v30 :: v_dual_mov_b32 v26, v25
	v_mov_b32_e32 v25, v24
	s_xor_b32 s4, s3, -1
	s_mov_b32 s3, -1
	s_and_b32 vcc_lo, exec_lo, s4
	s_cbranch_vccnz .LBB17_57
.LBB17_64:                              ;   in Loop: Header=BB17_53 Depth=2
                                        ; implicit-def: $vgpr27
                                        ; implicit-def: $vgpr25_vgpr26
	s_and_not1_b32 vcc_lo, exec_lo, s3
	s_cbranch_vccnz .LBB17_66
.LBB17_65:                              ;   in Loop: Header=BB17_53 Depth=2
	v_dual_mov_b32 v26, v23 :: v_dual_mov_b32 v25, v22
	v_mov_b32_e32 v27, v17
	ds_store_2addr_b32 v0, v17, v24 offset0:1 offset1:4
	global_store_b32 v[20:21], v0, off
.LBB17_66:                              ;   in Loop: Header=BB17_53 Depth=2
	v_lshlrev_b64 v[29:30], 2, v[25:26]
	v_add_nc_u32_e32 v28, 1, v24
	s_mov_b32 s3, exec_lo
	s_delay_alu instid0(VALU_DEP_2) | instskip(NEXT) | instid1(VALU_DEP_3)
	v_add_co_u32 v25, vcc_lo, s18, v29
	v_add_co_ci_u32_e32 v26, vcc_lo, s19, v30, vcc_lo
	global_load_b32 v36, v[25:26], off
	s_waitcnt vmcnt(0)
	ds_store_b32 v0, v36 offset:8
	v_cmpx_ne_u32_e64 v27, v24
	s_xor_b32 s66, exec_lo, s3
	s_cbranch_execz .LBB17_119
; %bb.67:                               ;   in Loop: Header=BB17_53 Depth=2
	s_mov_b32 s3, exec_lo
	v_cmpx_ne_u32_e64 v27, v28
	s_xor_b32 s4, exec_lo, s3
	s_cbranch_execz .LBB17_95
; %bb.68:                               ;   in Loop: Header=BB17_53 Depth=2
	v_add_co_u32 v29, vcc_lo, s10, v29
	v_add_co_ci_u32_e32 v30, vcc_lo, s33, v30, vcc_lo
	v_ashrrev_i32_e32 v28, 31, v27
	s_mov_b32 s67, exec_lo
	global_load_b32 v42, v[25:26], off offset:4
	global_load_b32 v44, v[29:30], off
	v_add_nc_u32_e32 v31, 1, v31
	v_lshlrev_b64 v[34:35], 2, v[27:28]
	ds_store_2addr_b32 v0, v0, v31 offset0:2 offset1:7
	v_add_co_u32 v32, vcc_lo, s18, v34
	v_add_co_ci_u32_e32 v33, vcc_lo, s19, v35, vcc_lo
	global_load_b32 v43, v[32:33], off
	s_waitcnt vmcnt(2)
	v_sub_f32_e32 v28, v42, v36
	s_waitcnt vmcnt(1)
	v_add_f32_e32 v42, v44, v44
	s_delay_alu instid0(VALU_DEP_1) | instskip(SKIP_1) | instid1(VALU_DEP_2)
	v_div_scale_f32 v45, null, v42, v42, v28
	v_div_scale_f32 v48, vcc_lo, v28, v42, v28
	v_rcp_f32_e32 v46, v45
	s_waitcnt_depctr 0xfff
	v_fma_f32 v47, -v45, v46, 1.0
	s_delay_alu instid0(VALU_DEP_1) | instskip(NEXT) | instid1(VALU_DEP_1)
	v_fmac_f32_e32 v46, v47, v46
	v_mul_f32_e32 v47, v48, v46
	s_delay_alu instid0(VALU_DEP_1) | instskip(NEXT) | instid1(VALU_DEP_1)
	v_fma_f32 v49, -v45, v47, v48
	v_fmac_f32_e32 v47, v49, v46
	s_delay_alu instid0(VALU_DEP_1) | instskip(NEXT) | instid1(VALU_DEP_1)
	v_fma_f32 v45, -v45, v47, v48
	v_div_fmas_f32 v45, v45, v46, v47
	s_delay_alu instid0(VALU_DEP_1) | instskip(NEXT) | instid1(VALU_DEP_1)
	v_div_fixup_f32 v28, v45, v42, v28
	v_fma_f32 v42, v28, v28, 1.0
	s_delay_alu instid0(VALU_DEP_1) | instskip(SKIP_1) | instid1(VALU_DEP_2)
	v_mul_f32_e32 v45, 0x4f800000, v42
	v_cmp_gt_f32_e32 vcc_lo, 0xf800000, v42
	v_cndmask_b32_e32 v42, v42, v45, vcc_lo
	s_delay_alu instid0(VALU_DEP_1) | instskip(SKIP_3) | instid1(VALU_DEP_2)
	v_sqrt_f32_e32 v45, v42
	s_waitcnt_depctr 0xfff
	v_add_nc_u32_e32 v46, -1, v45
	v_add_nc_u32_e32 v47, 1, v45
	v_fma_f32 v48, -v46, v45, v42
	s_delay_alu instid0(VALU_DEP_2) | instskip(NEXT) | instid1(VALU_DEP_2)
	v_fma_f32 v49, -v47, v45, v42
	v_cmp_ge_f32_e64 s3, 0, v48
	s_delay_alu instid0(VALU_DEP_1) | instskip(NEXT) | instid1(VALU_DEP_3)
	v_cndmask_b32_e64 v45, v45, v46, s3
	v_cmp_lt_f32_e64 s3, 0, v49
	s_delay_alu instid0(VALU_DEP_1) | instskip(NEXT) | instid1(VALU_DEP_1)
	v_cndmask_b32_e64 v45, v45, v47, s3
	v_mul_f32_e32 v46, 0x37800000, v45
	s_delay_alu instid0(VALU_DEP_1) | instskip(SKIP_1) | instid1(VALU_DEP_2)
	v_cndmask_b32_e32 v45, v45, v46, vcc_lo
	v_cmp_class_f32_e64 vcc_lo, v42, 0x260
	v_cndmask_b32_e32 v42, v45, v42, vcc_lo
	v_cmp_nle_f32_e32 vcc_lo, 0, v28
	s_delay_alu instid0(VALU_DEP_2) | instskip(NEXT) | instid1(VALU_DEP_1)
	v_cndmask_b32_e64 v42, |v42|, -|v42|, vcc_lo
	v_add_f32_e32 v28, v28, v42
	s_delay_alu instid0(VALU_DEP_1) | instskip(SKIP_1) | instid1(VALU_DEP_2)
	v_div_scale_f32 v42, null, v28, v28, v44
	v_div_scale_f32 v47, vcc_lo, v44, v28, v44
	v_rcp_f32_e32 v45, v42
	s_waitcnt_depctr 0xfff
	v_fma_f32 v46, -v42, v45, 1.0
	s_delay_alu instid0(VALU_DEP_1) | instskip(NEXT) | instid1(VALU_DEP_1)
	v_fmac_f32_e32 v45, v46, v45
	v_mul_f32_e32 v46, v47, v45
	s_delay_alu instid0(VALU_DEP_1) | instskip(NEXT) | instid1(VALU_DEP_1)
	v_fma_f32 v48, -v42, v46, v47
	v_fmac_f32_e32 v46, v48, v45
	s_delay_alu instid0(VALU_DEP_1) | instskip(NEXT) | instid1(VALU_DEP_1)
	v_fma_f32 v42, -v42, v46, v47
	v_div_fmas_f32 v42, v42, v45, v46
	s_waitcnt vmcnt(0)
	v_sub_f32_e32 v45, v43, v36
	s_delay_alu instid0(VALU_DEP_2) | instskip(SKIP_1) | instid1(VALU_DEP_2)
	v_div_fixup_f32 v28, v42, v28, v44
	v_mov_b32_e32 v42, 0
	v_add_f32_e32 v28, v45, v28
	v_cmpx_gt_i32_e64 v27, v24
	s_cbranch_execz .LBB17_94
; %bb.69:                               ;   in Loop: Header=BB17_53 Depth=2
	v_add_co_u32 v44, vcc_lo, s42, v34
	v_add_co_ci_u32_e32 v45, vcc_lo, s43, v35, vcc_lo
	v_mov_b32_e32 v36, 1.0
	s_mov_b32 s58, exec_lo
	global_load_b32 v44, v[44:45], off
	v_mov_b32_e32 v45, 0
	s_waitcnt vmcnt(0)
	v_cmpx_neq_f32_e32 0, v44
	s_cbranch_execz .LBB17_77
; %bb.70:                               ;   in Loop: Header=BB17_53 Depth=2
	v_dual_mov_b32 v45, 1.0 :: v_dual_mov_b32 v36, 0
	s_mov_b32 s59, exec_lo
	v_cmpx_neq_f32_e32 0, v28
	s_cbranch_execz .LBB17_76
; %bb.71:                               ;   in Loop: Header=BB17_53 Depth=2
	s_mov_b32 s60, exec_lo
                                        ; implicit-def: $vgpr45
                                        ; implicit-def: $vgpr36
	v_cmpx_ngt_f32_e64 |v44|, |v28|
	s_xor_b32 s60, exec_lo, s60
	s_cbranch_execz .LBB17_73
; %bb.72:                               ;   in Loop: Header=BB17_53 Depth=2
	v_div_scale_f32 v31, null, v28, v28, -v44
	v_div_scale_f32 v45, vcc_lo, -v44, v28, -v44
	s_delay_alu instid0(VALU_DEP_2) | instskip(SKIP_2) | instid1(VALU_DEP_1)
	v_rcp_f32_e32 v36, v31
	s_waitcnt_depctr 0xfff
	v_fma_f32 v42, -v31, v36, 1.0
	v_fmac_f32_e32 v36, v42, v36
	s_delay_alu instid0(VALU_DEP_1) | instskip(NEXT) | instid1(VALU_DEP_1)
	v_mul_f32_e32 v42, v45, v36
	v_fma_f32 v46, -v31, v42, v45
	s_delay_alu instid0(VALU_DEP_1) | instskip(NEXT) | instid1(VALU_DEP_1)
	v_fmac_f32_e32 v42, v46, v36
	v_fma_f32 v31, -v31, v42, v45
	s_delay_alu instid0(VALU_DEP_1) | instskip(NEXT) | instid1(VALU_DEP_1)
	v_div_fmas_f32 v31, v31, v36, v42
	v_div_fixup_f32 v28, v31, v28, -v44
	s_delay_alu instid0(VALU_DEP_1) | instskip(NEXT) | instid1(VALU_DEP_1)
	v_fma_f32 v31, v28, v28, 1.0
	v_mul_f32_e32 v36, 0x4f800000, v31
	v_cmp_gt_f32_e32 vcc_lo, 0xf800000, v31
	s_delay_alu instid0(VALU_DEP_2) | instskip(NEXT) | instid1(VALU_DEP_1)
	v_cndmask_b32_e32 v31, v31, v36, vcc_lo
	v_sqrt_f32_e32 v36, v31
	s_waitcnt_depctr 0xfff
	v_add_nc_u32_e32 v42, -1, v36
	v_add_nc_u32_e32 v45, 1, v36
	s_delay_alu instid0(VALU_DEP_2) | instskip(NEXT) | instid1(VALU_DEP_2)
	v_fma_f32 v46, -v42, v36, v31
	v_fma_f32 v47, -v45, v36, v31
	s_delay_alu instid0(VALU_DEP_2) | instskip(NEXT) | instid1(VALU_DEP_1)
	v_cmp_ge_f32_e64 s3, 0, v46
	v_cndmask_b32_e64 v36, v36, v42, s3
	s_delay_alu instid0(VALU_DEP_3) | instskip(NEXT) | instid1(VALU_DEP_1)
	v_cmp_lt_f32_e64 s3, 0, v47
	v_cndmask_b32_e64 v36, v36, v45, s3
	s_delay_alu instid0(VALU_DEP_1) | instskip(NEXT) | instid1(VALU_DEP_1)
	v_mul_f32_e32 v42, 0x37800000, v36
	v_cndmask_b32_e32 v36, v36, v42, vcc_lo
	v_cmp_class_f32_e64 vcc_lo, v31, 0x260
	s_delay_alu instid0(VALU_DEP_2) | instskip(NEXT) | instid1(VALU_DEP_1)
	v_cndmask_b32_e32 v31, v36, v31, vcc_lo
	v_div_scale_f32 v36, null, v31, v31, 1.0
	s_delay_alu instid0(VALU_DEP_1) | instskip(SKIP_2) | instid1(VALU_DEP_1)
	v_rcp_f32_e32 v42, v36
	s_waitcnt_depctr 0xfff
	v_fma_f32 v45, -v36, v42, 1.0
	v_fmac_f32_e32 v42, v45, v42
	v_div_scale_f32 v45, vcc_lo, 1.0, v31, 1.0
	s_delay_alu instid0(VALU_DEP_1) | instskip(NEXT) | instid1(VALU_DEP_1)
	v_mul_f32_e32 v46, v45, v42
	v_fma_f32 v47, -v36, v46, v45
	s_delay_alu instid0(VALU_DEP_1) | instskip(NEXT) | instid1(VALU_DEP_1)
	v_fmac_f32_e32 v46, v47, v42
	v_fma_f32 v36, -v36, v46, v45
	s_delay_alu instid0(VALU_DEP_1) | instskip(NEXT) | instid1(VALU_DEP_1)
	v_div_fmas_f32 v36, v36, v42, v46
	v_div_fixup_f32 v36, v36, v31, 1.0
	s_delay_alu instid0(VALU_DEP_1)
	v_mul_f32_e32 v45, v28, v36
                                        ; implicit-def: $vgpr28
.LBB17_73:                              ;   in Loop: Header=BB17_53 Depth=2
	s_and_not1_saveexec_b32 s60, s60
	s_cbranch_execz .LBB17_75
; %bb.74:                               ;   in Loop: Header=BB17_53 Depth=2
	v_div_scale_f32 v31, null, v44, v44, -v28
	v_div_scale_f32 v45, vcc_lo, -v28, v44, -v28
	s_delay_alu instid0(VALU_DEP_2) | instskip(SKIP_2) | instid1(VALU_DEP_1)
	v_rcp_f32_e32 v36, v31
	s_waitcnt_depctr 0xfff
	v_fma_f32 v42, -v31, v36, 1.0
	v_fmac_f32_e32 v36, v42, v36
	s_delay_alu instid0(VALU_DEP_1) | instskip(NEXT) | instid1(VALU_DEP_1)
	v_mul_f32_e32 v42, v45, v36
	v_fma_f32 v46, -v31, v42, v45
	s_delay_alu instid0(VALU_DEP_1) | instskip(NEXT) | instid1(VALU_DEP_1)
	v_fmac_f32_e32 v42, v46, v36
	v_fma_f32 v31, -v31, v42, v45
	s_delay_alu instid0(VALU_DEP_1) | instskip(NEXT) | instid1(VALU_DEP_1)
	v_div_fmas_f32 v31, v31, v36, v42
	v_div_fixup_f32 v28, v31, v44, -v28
	s_delay_alu instid0(VALU_DEP_1) | instskip(NEXT) | instid1(VALU_DEP_1)
	v_fma_f32 v31, v28, v28, 1.0
	v_mul_f32_e32 v36, 0x4f800000, v31
	v_cmp_gt_f32_e32 vcc_lo, 0xf800000, v31
	s_delay_alu instid0(VALU_DEP_2) | instskip(NEXT) | instid1(VALU_DEP_1)
	v_cndmask_b32_e32 v31, v31, v36, vcc_lo
	v_sqrt_f32_e32 v36, v31
	s_waitcnt_depctr 0xfff
	v_add_nc_u32_e32 v42, -1, v36
	v_add_nc_u32_e32 v45, 1, v36
	s_delay_alu instid0(VALU_DEP_2) | instskip(NEXT) | instid1(VALU_DEP_2)
	v_fma_f32 v46, -v42, v36, v31
	v_fma_f32 v47, -v45, v36, v31
	s_delay_alu instid0(VALU_DEP_2) | instskip(NEXT) | instid1(VALU_DEP_1)
	v_cmp_ge_f32_e64 s3, 0, v46
	v_cndmask_b32_e64 v36, v36, v42, s3
	s_delay_alu instid0(VALU_DEP_3) | instskip(NEXT) | instid1(VALU_DEP_1)
	v_cmp_lt_f32_e64 s3, 0, v47
	v_cndmask_b32_e64 v36, v36, v45, s3
	s_delay_alu instid0(VALU_DEP_1) | instskip(NEXT) | instid1(VALU_DEP_1)
	v_mul_f32_e32 v42, 0x37800000, v36
	v_cndmask_b32_e32 v36, v36, v42, vcc_lo
	v_cmp_class_f32_e64 vcc_lo, v31, 0x260
	s_delay_alu instid0(VALU_DEP_2) | instskip(NEXT) | instid1(VALU_DEP_1)
	v_cndmask_b32_e32 v31, v36, v31, vcc_lo
	v_div_scale_f32 v36, null, v31, v31, 1.0
	s_delay_alu instid0(VALU_DEP_1) | instskip(SKIP_2) | instid1(VALU_DEP_1)
	v_rcp_f32_e32 v42, v36
	s_waitcnt_depctr 0xfff
	v_fma_f32 v45, -v36, v42, 1.0
	v_fmac_f32_e32 v42, v45, v42
	v_div_scale_f32 v45, vcc_lo, 1.0, v31, 1.0
	s_delay_alu instid0(VALU_DEP_1) | instskip(NEXT) | instid1(VALU_DEP_1)
	v_mul_f32_e32 v46, v45, v42
	v_fma_f32 v47, -v36, v46, v45
	s_delay_alu instid0(VALU_DEP_1) | instskip(NEXT) | instid1(VALU_DEP_1)
	v_fmac_f32_e32 v46, v47, v42
	v_fma_f32 v36, -v36, v46, v45
	s_delay_alu instid0(VALU_DEP_1) | instskip(NEXT) | instid1(VALU_DEP_1)
	v_div_fmas_f32 v36, v36, v42, v46
	v_div_fixup_f32 v45, v36, v31, 1.0
	s_delay_alu instid0(VALU_DEP_1)
	v_mul_f32_e32 v36, v28, v45
.LBB17_75:                              ;   in Loop: Header=BB17_53 Depth=2
	s_or_b32 exec_lo, exec_lo, s60
.LBB17_76:                              ;   in Loop: Header=BB17_53 Depth=2
	s_delay_alu instid0(SALU_CYCLE_1)
	s_or_b32 exec_lo, exec_lo, s59
.LBB17_77:                              ;   in Loop: Header=BB17_53 Depth=2
	s_delay_alu instid0(SALU_CYCLE_1)
	s_or_b32 exec_lo, exec_lo, s58
	global_load_b32 v28, v[32:33], off offset:-4
	v_dual_add_f32 v42, v36, v36 :: v_dual_add_nc_u32 v31, -1, v27
	v_add_co_u32 v34, vcc_lo, s44, v34
	v_add_co_ci_u32_e32 v35, vcc_lo, s45, v35, vcc_lo
	s_mov_b32 s68, exec_lo
	s_delay_alu instid0(VALU_DEP_2) | instskip(NEXT) | instid1(VALU_DEP_2)
	v_add_co_u32 v46, vcc_lo, v34, s46
	v_add_co_ci_u32_e32 v47, vcc_lo, s47, v35, vcc_lo
	s_waitcnt vmcnt(0)
	v_sub_f32_e32 v28, v28, v43
	s_delay_alu instid0(VALU_DEP_1) | instskip(NEXT) | instid1(VALU_DEP_1)
	v_mul_f32_e32 v28, v45, v28
	v_fma_f32 v28, v44, v42, -v28
	s_delay_alu instid0(VALU_DEP_1)
	v_mul_f32_e64 v42, v28, -v45
	v_fma_f32 v43, v28, -v45, v43
	v_fma_f32 v28, v36, v28, -v44
	ds_store_b32 v0, v42 offset:8
	global_store_b32 v[32:33], v43, off
	s_clause 0x1
	global_store_b32 v[34:35], v36, off
	global_store_b32 v[46:47], v45, off offset:-4
	v_cmpx_gt_i32_e64 v31, v24
	s_cbranch_execz .LBB17_93
; %bb.78:                               ;   in Loop: Header=BB17_53 Depth=2
	v_ashrrev_i32_e32 v32, 31, v31
	v_xor_b32_e32 v43, 0x80000000, v45
	s_mov_b32 s69, -1
	s_mov_b32 s82, 0
	s_mov_b64 s[58:59], s[42:43]
	v_lshlrev_b64 v[31:32], 2, v[31:32]
	s_mov_b64 s[60:61], s[18:19]
	s_mov_b64 s[62:63], s[50:51]
	;; [unrolled: 1-line block ×3, first 2 shown]
	s_branch .LBB17_80
.LBB17_79:                              ;   in Loop: Header=BB17_80 Depth=3
	v_add_co_u32 v33, vcc_lo, s60, v31
	v_add_co_ci_u32_e32 v34, vcc_lo, s61, v32, vcc_lo
	v_dual_mul_f32 v28, v36, v35 :: v_dual_add_f32 v35, v45, v45
	v_xor_b32_e32 v43, 0x80000000, v44
	global_load_b64 v[46:47], v[33:34], off offset:-4
	s_waitcnt vmcnt(0)
	v_sub_f32_e32 v42, v47, v42
	v_add_co_u32 v47, vcc_lo, s64, v31
	v_add_co_ci_u32_e32 v48, vcc_lo, s65, v32, vcc_lo
	s_add_u32 s64, s64, -4
	v_add_co_u32 v49, vcc_lo, s62, v31
	s_addc_u32 s65, s65, -1
	s_add_u32 s62, s62, -4
	v_add_co_ci_u32_e32 v50, vcc_lo, s63, v32, vcc_lo
	s_addc_u32 s63, s63, -1
	s_add_i32 s69, s69, -1
	s_add_u32 s60, s60, -4
	v_dual_sub_f32 v36, v46, v42 :: v_dual_add_nc_u32 v51, s69, v27
	s_addc_u32 s61, s61, -1
	s_add_u32 s58, s58, -4
	s_addc_u32 s59, s59, -1
	s_delay_alu instid0(VALU_DEP_1) | instskip(SKIP_3) | instid1(VALU_DEP_2)
	v_cmp_le_i32_e32 vcc_lo, v51, v24
	v_mul_f32_e32 v46, v44, v36
	v_mov_b32_e32 v36, v45
	s_or_b32 s82, vcc_lo, s82
	v_fma_f32 v35, v28, v35, -v46
	s_delay_alu instid0(VALU_DEP_1)
	v_fma_f32 v46, v35, -v44, v42
	v_mul_f32_e64 v42, v35, -v44
	v_fma_f32 v28, v45, v35, -v28
	global_store_b32 v[33:34], v46, off
	global_store_b32 v[47:48], v45, off
	;; [unrolled: 1-line block ×3, first 2 shown]
	s_and_not1_b32 exec_lo, exec_lo, s82
	s_cbranch_execz .LBB17_92
.LBB17_80:                              ;   Parent Loop BB17_7 Depth=1
                                        ;     Parent Loop BB17_53 Depth=2
                                        ; =>    This Inner Loop Header: Depth=3
	s_delay_alu instid0(VALU_DEP_1)
	v_add_co_u32 v33, vcc_lo, s58, v31
	v_add_co_ci_u32_e32 v34, vcc_lo, s59, v32, vcc_lo
	v_mov_b32_e32 v45, 1.0
	s_mov_b32 s83, exec_lo
	v_mov_b32_e32 v44, 0
	global_load_b32 v35, v[33:34], off
	s_waitcnt vmcnt(0)
	v_mul_f32_e32 v43, v43, v35
	s_delay_alu instid0(VALU_DEP_1)
	v_cmpx_neq_f32_e32 0, v43
	s_cbranch_execz .LBB17_90
; %bb.81:                               ;   in Loop: Header=BB17_80 Depth=3
                                        ; implicit-def: $vgpr44
                                        ; implicit-def: $vgpr45
	s_mov_b32 s3, exec_lo
	v_cmpx_neq_f32_e32 0, v28
	s_xor_b32 s84, exec_lo, s3
	s_cbranch_execz .LBB17_87
; %bb.82:                               ;   in Loop: Header=BB17_80 Depth=3
	s_mov_b32 s85, exec_lo
                                        ; implicit-def: $vgpr44
                                        ; implicit-def: $vgpr45
	v_cmpx_ngt_f32_e64 |v43|, |v28|
	s_xor_b32 s85, exec_lo, s85
	s_cbranch_execz .LBB17_84
; %bb.83:                               ;   in Loop: Header=BB17_80 Depth=3
	v_div_scale_f32 v44, null, v28, v28, -v43
	v_div_scale_f32 v47, vcc_lo, -v43, v28, -v43
	s_delay_alu instid0(VALU_DEP_2) | instskip(SKIP_2) | instid1(VALU_DEP_1)
	v_rcp_f32_e32 v45, v44
	s_waitcnt_depctr 0xfff
	v_fma_f32 v46, -v44, v45, 1.0
	v_fmac_f32_e32 v45, v46, v45
	s_delay_alu instid0(VALU_DEP_1) | instskip(NEXT) | instid1(VALU_DEP_1)
	v_mul_f32_e32 v46, v47, v45
	v_fma_f32 v48, -v44, v46, v47
	s_delay_alu instid0(VALU_DEP_1) | instskip(NEXT) | instid1(VALU_DEP_1)
	v_fmac_f32_e32 v46, v48, v45
	v_fma_f32 v44, -v44, v46, v47
	s_delay_alu instid0(VALU_DEP_1) | instskip(NEXT) | instid1(VALU_DEP_1)
	v_div_fmas_f32 v44, v44, v45, v46
	v_div_fixup_f32 v44, v44, v28, -v43
	s_delay_alu instid0(VALU_DEP_1) | instskip(NEXT) | instid1(VALU_DEP_1)
	v_fma_f32 v45, v44, v44, 1.0
	v_mul_f32_e32 v46, 0x4f800000, v45
	v_cmp_gt_f32_e32 vcc_lo, 0xf800000, v45
	s_delay_alu instid0(VALU_DEP_2) | instskip(NEXT) | instid1(VALU_DEP_1)
	v_cndmask_b32_e32 v45, v45, v46, vcc_lo
	v_sqrt_f32_e32 v46, v45
	s_waitcnt_depctr 0xfff
	v_add_nc_u32_e32 v47, -1, v46
	v_add_nc_u32_e32 v48, 1, v46
	s_delay_alu instid0(VALU_DEP_2) | instskip(NEXT) | instid1(VALU_DEP_2)
	v_fma_f32 v49, -v47, v46, v45
	v_fma_f32 v50, -v48, v46, v45
	s_delay_alu instid0(VALU_DEP_2) | instskip(NEXT) | instid1(VALU_DEP_1)
	v_cmp_ge_f32_e64 s3, 0, v49
	v_cndmask_b32_e64 v46, v46, v47, s3
	s_delay_alu instid0(VALU_DEP_3) | instskip(NEXT) | instid1(VALU_DEP_1)
	v_cmp_lt_f32_e64 s3, 0, v50
	v_cndmask_b32_e64 v46, v46, v48, s3
	s_delay_alu instid0(VALU_DEP_1) | instskip(NEXT) | instid1(VALU_DEP_1)
	v_mul_f32_e32 v47, 0x37800000, v46
	v_cndmask_b32_e32 v46, v46, v47, vcc_lo
	v_cmp_class_f32_e64 vcc_lo, v45, 0x260
	s_delay_alu instid0(VALU_DEP_2) | instskip(NEXT) | instid1(VALU_DEP_1)
	v_cndmask_b32_e32 v45, v46, v45, vcc_lo
	v_div_scale_f32 v46, null, v45, v45, 1.0
	s_delay_alu instid0(VALU_DEP_1) | instskip(SKIP_2) | instid1(VALU_DEP_1)
	v_rcp_f32_e32 v47, v46
	s_waitcnt_depctr 0xfff
	v_fma_f32 v48, -v46, v47, 1.0
	v_fmac_f32_e32 v47, v48, v47
	v_div_scale_f32 v48, vcc_lo, 1.0, v45, 1.0
	s_delay_alu instid0(VALU_DEP_1) | instskip(NEXT) | instid1(VALU_DEP_1)
	v_mul_f32_e32 v49, v48, v47
	v_fma_f32 v50, -v46, v49, v48
	s_delay_alu instid0(VALU_DEP_1) | instskip(NEXT) | instid1(VALU_DEP_1)
	v_fmac_f32_e32 v49, v50, v47
	v_fma_f32 v46, -v46, v49, v48
	s_delay_alu instid0(VALU_DEP_1) | instskip(NEXT) | instid1(VALU_DEP_1)
	v_div_fmas_f32 v46, v46, v47, v49
	v_div_fixup_f32 v45, v46, v45, 1.0
	s_delay_alu instid0(VALU_DEP_1)
	v_mul_f32_e32 v44, v44, v45
.LBB17_84:                              ;   in Loop: Header=BB17_80 Depth=3
	s_and_not1_saveexec_b32 s85, s85
	s_cbranch_execz .LBB17_86
; %bb.85:                               ;   in Loop: Header=BB17_80 Depth=3
	v_div_scale_f32 v44, null, v43, v43, -v28
	v_div_scale_f32 v47, vcc_lo, -v28, v43, -v28
	s_delay_alu instid0(VALU_DEP_2) | instskip(SKIP_2) | instid1(VALU_DEP_1)
	v_rcp_f32_e32 v45, v44
	s_waitcnt_depctr 0xfff
	v_fma_f32 v46, -v44, v45, 1.0
	v_fmac_f32_e32 v45, v46, v45
	s_delay_alu instid0(VALU_DEP_1) | instskip(NEXT) | instid1(VALU_DEP_1)
	v_mul_f32_e32 v46, v47, v45
	v_fma_f32 v48, -v44, v46, v47
	s_delay_alu instid0(VALU_DEP_1) | instskip(NEXT) | instid1(VALU_DEP_1)
	v_fmac_f32_e32 v46, v48, v45
	v_fma_f32 v44, -v44, v46, v47
	s_delay_alu instid0(VALU_DEP_1) | instskip(NEXT) | instid1(VALU_DEP_1)
	v_div_fmas_f32 v44, v44, v45, v46
	v_div_fixup_f32 v45, v44, v43, -v28
	s_delay_alu instid0(VALU_DEP_1) | instskip(NEXT) | instid1(VALU_DEP_1)
	v_fma_f32 v44, v45, v45, 1.0
	v_mul_f32_e32 v46, 0x4f800000, v44
	v_cmp_gt_f32_e32 vcc_lo, 0xf800000, v44
	s_delay_alu instid0(VALU_DEP_2) | instskip(NEXT) | instid1(VALU_DEP_1)
	v_cndmask_b32_e32 v44, v44, v46, vcc_lo
	v_sqrt_f32_e32 v46, v44
	s_waitcnt_depctr 0xfff
	v_add_nc_u32_e32 v47, -1, v46
	v_add_nc_u32_e32 v48, 1, v46
	s_delay_alu instid0(VALU_DEP_2) | instskip(NEXT) | instid1(VALU_DEP_2)
	v_fma_f32 v49, -v47, v46, v44
	v_fma_f32 v50, -v48, v46, v44
	s_delay_alu instid0(VALU_DEP_2) | instskip(NEXT) | instid1(VALU_DEP_1)
	v_cmp_ge_f32_e64 s3, 0, v49
	v_cndmask_b32_e64 v46, v46, v47, s3
	s_delay_alu instid0(VALU_DEP_3) | instskip(NEXT) | instid1(VALU_DEP_1)
	v_cmp_lt_f32_e64 s3, 0, v50
	v_cndmask_b32_e64 v46, v46, v48, s3
	s_delay_alu instid0(VALU_DEP_1) | instskip(NEXT) | instid1(VALU_DEP_1)
	v_mul_f32_e32 v47, 0x37800000, v46
	v_cndmask_b32_e32 v46, v46, v47, vcc_lo
	v_cmp_class_f32_e64 vcc_lo, v44, 0x260
	s_delay_alu instid0(VALU_DEP_2) | instskip(NEXT) | instid1(VALU_DEP_1)
	v_cndmask_b32_e32 v44, v46, v44, vcc_lo
	v_div_scale_f32 v46, null, v44, v44, 1.0
	s_delay_alu instid0(VALU_DEP_1) | instskip(SKIP_2) | instid1(VALU_DEP_1)
	v_rcp_f32_e32 v47, v46
	s_waitcnt_depctr 0xfff
	v_fma_f32 v48, -v46, v47, 1.0
	v_fmac_f32_e32 v47, v48, v47
	v_div_scale_f32 v48, vcc_lo, 1.0, v44, 1.0
	s_delay_alu instid0(VALU_DEP_1) | instskip(NEXT) | instid1(VALU_DEP_1)
	v_mul_f32_e32 v49, v48, v47
	v_fma_f32 v50, -v46, v49, v48
	s_delay_alu instid0(VALU_DEP_1) | instskip(NEXT) | instid1(VALU_DEP_1)
	v_fmac_f32_e32 v49, v50, v47
	v_fma_f32 v46, -v46, v49, v48
	s_delay_alu instid0(VALU_DEP_1) | instskip(NEXT) | instid1(VALU_DEP_1)
	v_div_fmas_f32 v46, v46, v47, v49
	v_div_fixup_f32 v44, v46, v44, 1.0
	s_delay_alu instid0(VALU_DEP_1)
	v_mul_f32_e32 v45, v45, v44
.LBB17_86:                              ;   in Loop: Header=BB17_80 Depth=3
	s_or_b32 exec_lo, exec_lo, s85
	s_delay_alu instid0(VALU_DEP_1) | instskip(NEXT) | instid1(VALU_DEP_1)
	v_mul_f32_e32 v43, v43, v44
	v_fma_f32 v28, v28, v45, -v43
                                        ; implicit-def: $vgpr43
.LBB17_87:                              ;   in Loop: Header=BB17_80 Depth=3
	s_and_not1_saveexec_b32 s3, s84
; %bb.88:                               ;   in Loop: Header=BB17_80 Depth=3
	v_xor_b32_e32 v28, 0x80000000, v43
	v_dual_mov_b32 v44, 1.0 :: v_dual_mov_b32 v45, 0
; %bb.89:                               ;   in Loop: Header=BB17_80 Depth=3
	s_or_b32 exec_lo, exec_lo, s3
.LBB17_90:                              ;   in Loop: Header=BB17_80 Depth=3
	s_delay_alu instid0(SALU_CYCLE_1)
	s_or_b32 exec_lo, exec_lo, s83
	s_cmp_eq_u32 s69, 0
	s_cbranch_scc1 .LBB17_79
; %bb.91:                               ;   in Loop: Header=BB17_80 Depth=3
	global_store_b32 v[33:34], v28, off offset:4
	s_branch .LBB17_79
.LBB17_92:                              ;   in Loop: Header=BB17_53 Depth=2
	s_or_b32 exec_lo, exec_lo, s82
	ds_store_b32 v0, v42 offset:8
.LBB17_93:                              ;   in Loop: Header=BB17_53 Depth=2
	s_or_b32 exec_lo, exec_lo, s68
	global_load_b32 v36, v[25:26], off
.LBB17_94:                              ;   in Loop: Header=BB17_53 Depth=2
	s_or_b32 exec_lo, exec_lo, s67
	s_waitcnt vmcnt(0)
	v_sub_f32_e32 v24, v36, v42
                                        ; implicit-def: $vgpr36
	global_store_b32 v[25:26], v24, off
	global_store_b32 v[29:30], v28, off
                                        ; implicit-def: $vgpr29_vgpr30
                                        ; implicit-def: $vgpr25_vgpr26
                                        ; implicit-def: $vgpr24
.LBB17_95:                              ;   in Loop: Header=BB17_53 Depth=2
	s_and_not1_saveexec_b32 s58, s4
	s_cbranch_execz .LBB17_128
; %bb.96:                               ;   in Loop: Header=BB17_53 Depth=2
	v_add_co_u32 v27, vcc_lo, s10, v29
	v_add_co_ci_u32_e32 v28, vcc_lo, s33, v30, vcc_lo
	s_mov_b32 s4, exec_lo
                                        ; implicit-def: $vgpr35
	global_load_b32 v42, v[27:28], off
	global_load_b32 v31, v[25:26], off offset:4
	s_waitcnt vmcnt(0)
	v_dual_add_f32 v33, v42, v42 :: v_dual_sub_f32 v34, v36, v31
	s_delay_alu instid0(VALU_DEP_1) | instskip(NEXT) | instid1(VALU_DEP_2)
	v_and_b32_e32 v32, 0x7fffffff, v33
	v_cmpx_ngt_f32_e64 |v34|, |v33|
	s_xor_b32 s4, exec_lo, s4
	s_cbranch_execz .LBB17_102
; %bb.97:                               ;   in Loop: Header=BB17_53 Depth=2
	v_cmp_nlt_f32_e64 s3, |v34|, |v33|
                                        ; implicit-def: $vgpr35
	s_delay_alu instid0(VALU_DEP_1) | instskip(NEXT) | instid1(SALU_CYCLE_1)
	s_and_saveexec_b32 s59, s3
	s_xor_b32 s3, exec_lo, s59
; %bb.98:                               ;   in Loop: Header=BB17_53 Depth=2
	v_cvt_f64_f32_e32 v[43:44], v32
                                        ; implicit-def: $vgpr32
	s_delay_alu instid0(VALU_DEP_1) | instskip(NEXT) | instid1(VALU_DEP_1)
	v_mul_f64 v[43:44], v[43:44], s[56:57]
	v_cvt_f32_f64_e32 v35, v[43:44]
; %bb.99:                               ;   in Loop: Header=BB17_53 Depth=2
	s_and_not1_saveexec_b32 s59, s3
	s_cbranch_execz .LBB17_101
; %bb.100:                              ;   in Loop: Header=BB17_53 Depth=2
	v_and_b32_e32 v35, 0x7fffffff, v34
	s_delay_alu instid0(VALU_DEP_1) | instskip(NEXT) | instid1(VALU_DEP_1)
	v_div_scale_f32 v43, null, v32, v32, v35
	v_rcp_f32_e32 v44, v43
	s_waitcnt_depctr 0xfff
	v_fma_f32 v45, -v43, v44, 1.0
	s_delay_alu instid0(VALU_DEP_1) | instskip(SKIP_1) | instid1(VALU_DEP_1)
	v_fmac_f32_e32 v44, v45, v44
	v_div_scale_f32 v32, vcc_lo, v35, v32, v35
	v_mul_f32_e32 v35, v32, v44
	s_delay_alu instid0(VALU_DEP_1) | instskip(NEXT) | instid1(VALU_DEP_1)
	v_fma_f32 v45, -v43, v35, v32
	v_fmac_f32_e32 v35, v45, v44
	s_delay_alu instid0(VALU_DEP_1) | instskip(NEXT) | instid1(VALU_DEP_1)
	v_fma_f32 v32, -v43, v35, v32
	v_div_fmas_f32 v32, v32, v44, v35
	s_delay_alu instid0(VALU_DEP_1) | instskip(NEXT) | instid1(VALU_DEP_1)
	v_div_fixup_f32 v32, v32, |v33|, |v34|
	v_fma_f32 v32, v32, v32, 1.0
	s_delay_alu instid0(VALU_DEP_1) | instskip(SKIP_1) | instid1(VALU_DEP_2)
	v_mul_f32_e32 v35, 0x4f800000, v32
	v_cmp_gt_f32_e32 vcc_lo, 0xf800000, v32
	v_cndmask_b32_e32 v32, v32, v35, vcc_lo
	s_delay_alu instid0(VALU_DEP_1) | instskip(SKIP_3) | instid1(VALU_DEP_2)
	v_sqrt_f32_e32 v35, v32
	s_waitcnt_depctr 0xfff
	v_add_nc_u32_e32 v43, -1, v35
	v_add_nc_u32_e32 v44, 1, v35
	v_fma_f32 v45, -v43, v35, v32
	s_delay_alu instid0(VALU_DEP_2) | instskip(NEXT) | instid1(VALU_DEP_2)
	v_fma_f32 v46, -v44, v35, v32
	v_cmp_ge_f32_e64 s3, 0, v45
	s_delay_alu instid0(VALU_DEP_1) | instskip(NEXT) | instid1(VALU_DEP_3)
	v_cndmask_b32_e64 v35, v35, v43, s3
	v_cmp_lt_f32_e64 s3, 0, v46
	s_delay_alu instid0(VALU_DEP_1) | instskip(NEXT) | instid1(VALU_DEP_1)
	v_cndmask_b32_e64 v35, v35, v44, s3
	v_mul_f32_e32 v43, 0x37800000, v35
	s_delay_alu instid0(VALU_DEP_1) | instskip(SKIP_1) | instid1(VALU_DEP_2)
	v_cndmask_b32_e32 v35, v35, v43, vcc_lo
	v_cmp_class_f32_e64 vcc_lo, v32, 0x260
	v_cndmask_b32_e32 v32, v35, v32, vcc_lo
	s_delay_alu instid0(VALU_DEP_1)
	v_mul_f32_e64 v35, |v33|, v32
.LBB17_101:                             ;   in Loop: Header=BB17_53 Depth=2
	s_or_b32 exec_lo, exec_lo, s59
                                        ; implicit-def: $vgpr32
.LBB17_102:                             ;   in Loop: Header=BB17_53 Depth=2
	s_and_not1_saveexec_b32 s4, s4
	s_cbranch_execz .LBB17_104
; %bb.103:                              ;   in Loop: Header=BB17_53 Depth=2
	v_and_b32_e32 v35, 0x7fffffff, v34
	s_delay_alu instid0(VALU_DEP_1) | instskip(NEXT) | instid1(VALU_DEP_1)
	v_div_scale_f32 v43, null, v35, v35, v32
	v_rcp_f32_e32 v44, v43
	s_waitcnt_depctr 0xfff
	v_fma_f32 v45, -v43, v44, 1.0
	s_delay_alu instid0(VALU_DEP_1) | instskip(SKIP_1) | instid1(VALU_DEP_1)
	v_fmac_f32_e32 v44, v45, v44
	v_div_scale_f32 v32, vcc_lo, v32, v35, v32
	v_mul_f32_e32 v35, v32, v44
	s_delay_alu instid0(VALU_DEP_1) | instskip(NEXT) | instid1(VALU_DEP_1)
	v_fma_f32 v45, -v43, v35, v32
	v_fmac_f32_e32 v35, v45, v44
	s_delay_alu instid0(VALU_DEP_1) | instskip(NEXT) | instid1(VALU_DEP_1)
	v_fma_f32 v32, -v43, v35, v32
	v_div_fmas_f32 v32, v32, v44, v35
	s_delay_alu instid0(VALU_DEP_1) | instskip(NEXT) | instid1(VALU_DEP_1)
	v_div_fixup_f32 v32, v32, |v34|, |v33|
	v_fma_f32 v32, v32, v32, 1.0
	s_delay_alu instid0(VALU_DEP_1) | instskip(SKIP_1) | instid1(VALU_DEP_2)
	v_mul_f32_e32 v35, 0x4f800000, v32
	v_cmp_gt_f32_e32 vcc_lo, 0xf800000, v32
	v_cndmask_b32_e32 v32, v32, v35, vcc_lo
	s_delay_alu instid0(VALU_DEP_1) | instskip(SKIP_3) | instid1(VALU_DEP_2)
	v_sqrt_f32_e32 v35, v32
	s_waitcnt_depctr 0xfff
	v_add_nc_u32_e32 v43, -1, v35
	v_add_nc_u32_e32 v44, 1, v35
	v_fma_f32 v45, -v43, v35, v32
	s_delay_alu instid0(VALU_DEP_2) | instskip(NEXT) | instid1(VALU_DEP_2)
	v_fma_f32 v46, -v44, v35, v32
	v_cmp_ge_f32_e64 s3, 0, v45
	s_delay_alu instid0(VALU_DEP_1) | instskip(NEXT) | instid1(VALU_DEP_3)
	v_cndmask_b32_e64 v35, v35, v43, s3
	v_cmp_lt_f32_e64 s3, 0, v46
	s_delay_alu instid0(VALU_DEP_1) | instskip(NEXT) | instid1(VALU_DEP_1)
	v_cndmask_b32_e64 v35, v35, v44, s3
	v_mul_f32_e32 v43, 0x37800000, v35
	s_delay_alu instid0(VALU_DEP_1) | instskip(SKIP_1) | instid1(VALU_DEP_2)
	v_cndmask_b32_e32 v35, v35, v43, vcc_lo
	v_cmp_class_f32_e64 vcc_lo, v32, 0x260
	v_cndmask_b32_e32 v32, v35, v32, vcc_lo
	s_delay_alu instid0(VALU_DEP_1)
	v_mul_f32_e64 v35, |v34|, v32
.LBB17_104:                             ;   in Loop: Header=BB17_53 Depth=2
	s_or_b32 exec_lo, exec_lo, s4
	v_cmp_gt_f32_e64 vcc_lo, |v36|, |v31|
	v_add_f32_e32 v44, v36, v31
                                        ; implicit-def: $vgpr32
	s_mov_b32 s3, exec_lo
	v_cndmask_b32_e32 v45, v31, v36, vcc_lo
	v_cndmask_b32_e32 v43, v36, v31, vcc_lo
                                        ; implicit-def: $vgpr36
	s_delay_alu instid0(VALU_DEP_3)
	v_cmpx_ngt_f32_e32 0, v44
	s_xor_b32 s4, exec_lo, s3
	s_cbranch_execz .LBB17_110
; %bb.105:                              ;   in Loop: Header=BB17_53 Depth=2
	s_mov_b32 s59, exec_lo
                                        ; implicit-def: $sgpr3
                                        ; implicit-def: $vgpr32
	v_cmpx_nlt_f32_e32 0, v44
	s_xor_b32 s59, exec_lo, s59
; %bb.106:                              ;   in Loop: Header=BB17_53 Depth=2
	v_mul_f32_e32 v31, 0.5, v35
	v_mul_f32_e32 v32, -0.5, v35
	s_mov_b32 s3, 1
                                        ; implicit-def: $vgpr44
                                        ; implicit-def: $vgpr45
                                        ; implicit-def: $vgpr43
                                        ; implicit-def: $vgpr42
; %bb.107:                              ;   in Loop: Header=BB17_53 Depth=2
	s_or_saveexec_b32 s59, s59
	v_mov_b32_e32 v36, s3
	s_xor_b32 exec_lo, exec_lo, s59
	s_cbranch_execz .LBB17_109
; %bb.108:                              ;   in Loop: Header=BB17_53 Depth=2
	v_dual_add_f32 v31, v44, v35 :: v_dual_mov_b32 v36, 1
	v_cvt_f64_f32_e32 v[44:45], v45
	v_cvt_f64_f32_e32 v[48:49], v42
	v_cvt_f64_f32_e32 v[42:43], v43
	s_delay_alu instid0(VALU_DEP_4) | instskip(NEXT) | instid1(VALU_DEP_1)
	v_mul_f32_e32 v31, 0.5, v31
	v_cvt_f64_f32_e32 v[46:47], v31
	s_delay_alu instid0(VALU_DEP_1) | instskip(SKIP_2) | instid1(VALU_DEP_3)
	v_div_scale_f64 v[50:51], null, v[46:47], v[46:47], v[44:45]
	v_div_scale_f64 v[52:53], null, v[46:47], v[46:47], v[48:49]
	v_div_scale_f64 v[62:63], vcc_lo, v[44:45], v[46:47], v[44:45]
	v_rcp_f64_e32 v[54:55], v[50:51]
	s_delay_alu instid0(VALU_DEP_2) | instskip(SKIP_3) | instid1(VALU_DEP_2)
	v_rcp_f64_e32 v[56:57], v[52:53]
	s_waitcnt_depctr 0xfff
	v_fma_f64 v[58:59], -v[50:51], v[54:55], 1.0
	v_fma_f64 v[60:61], -v[52:53], v[56:57], 1.0
	v_fma_f64 v[54:55], v[54:55], v[58:59], v[54:55]
	s_delay_alu instid0(VALU_DEP_2) | instskip(NEXT) | instid1(VALU_DEP_2)
	v_fma_f64 v[56:57], v[56:57], v[60:61], v[56:57]
	v_fma_f64 v[58:59], -v[50:51], v[54:55], 1.0
	s_delay_alu instid0(VALU_DEP_2) | instskip(NEXT) | instid1(VALU_DEP_2)
	v_fma_f64 v[60:61], -v[52:53], v[56:57], 1.0
	v_fma_f64 v[54:55], v[54:55], v[58:59], v[54:55]
	v_div_scale_f64 v[58:59], s3, v[48:49], v[46:47], v[48:49]
	s_delay_alu instid0(VALU_DEP_3) | instskip(NEXT) | instid1(VALU_DEP_3)
	v_fma_f64 v[56:57], v[56:57], v[60:61], v[56:57]
	v_mul_f64 v[60:61], v[62:63], v[54:55]
	s_delay_alu instid0(VALU_DEP_2) | instskip(NEXT) | instid1(VALU_DEP_2)
	v_mul_f64 v[64:65], v[58:59], v[56:57]
	v_fma_f64 v[50:51], -v[50:51], v[60:61], v[62:63]
	s_delay_alu instid0(VALU_DEP_2) | instskip(NEXT) | instid1(VALU_DEP_2)
	v_fma_f64 v[52:53], -v[52:53], v[64:65], v[58:59]
	v_div_fmas_f64 v[50:51], v[50:51], v[54:55], v[60:61]
	s_mov_b32 vcc_lo, s3
	s_delay_alu instid0(VALU_DEP_2) | instskip(NEXT) | instid1(VALU_DEP_2)
	v_div_fmas_f64 v[52:53], v[52:53], v[56:57], v[64:65]
	v_div_fixup_f64 v[44:45], v[50:51], v[46:47], v[44:45]
	s_delay_alu instid0(VALU_DEP_2) | instskip(NEXT) | instid1(VALU_DEP_1)
	v_div_fixup_f64 v[52:53], v[52:53], v[46:47], v[48:49]
	v_mul_f64 v[46:47], v[52:53], v[48:49]
	s_delay_alu instid0(VALU_DEP_1) | instskip(NEXT) | instid1(VALU_DEP_1)
	v_fma_f64 v[42:43], v[44:45], v[42:43], -v[46:47]
	v_cvt_f32_f64_e32 v32, v[42:43]
.LBB17_109:                             ;   in Loop: Header=BB17_53 Depth=2
	s_or_b32 exec_lo, exec_lo, s59
                                        ; implicit-def: $vgpr44
                                        ; implicit-def: $vgpr45
                                        ; implicit-def: $vgpr43
                                        ; implicit-def: $vgpr42
.LBB17_110:                             ;   in Loop: Header=BB17_53 Depth=2
	s_and_not1_saveexec_b32 s4, s4
	s_cbranch_execz .LBB17_112
; %bb.111:                              ;   in Loop: Header=BB17_53 Depth=2
	v_dual_sub_f32 v31, v44, v35 :: v_dual_mov_b32 v36, -1
	v_cvt_f64_f32_e32 v[44:45], v45
	v_cvt_f64_f32_e32 v[48:49], v42
	;; [unrolled: 1-line block ×3, first 2 shown]
	s_delay_alu instid0(VALU_DEP_4) | instskip(NEXT) | instid1(VALU_DEP_1)
	v_mul_f32_e32 v31, 0.5, v31
	v_cvt_f64_f32_e32 v[46:47], v31
	s_delay_alu instid0(VALU_DEP_1) | instskip(SKIP_2) | instid1(VALU_DEP_3)
	v_div_scale_f64 v[50:51], null, v[46:47], v[46:47], v[44:45]
	v_div_scale_f64 v[52:53], null, v[46:47], v[46:47], v[48:49]
	v_div_scale_f64 v[62:63], vcc_lo, v[44:45], v[46:47], v[44:45]
	v_rcp_f64_e32 v[54:55], v[50:51]
	s_delay_alu instid0(VALU_DEP_2) | instskip(SKIP_3) | instid1(VALU_DEP_2)
	v_rcp_f64_e32 v[56:57], v[52:53]
	s_waitcnt_depctr 0xfff
	v_fma_f64 v[58:59], -v[50:51], v[54:55], 1.0
	v_fma_f64 v[60:61], -v[52:53], v[56:57], 1.0
	v_fma_f64 v[54:55], v[54:55], v[58:59], v[54:55]
	s_delay_alu instid0(VALU_DEP_2) | instskip(NEXT) | instid1(VALU_DEP_2)
	v_fma_f64 v[56:57], v[56:57], v[60:61], v[56:57]
	v_fma_f64 v[58:59], -v[50:51], v[54:55], 1.0
	s_delay_alu instid0(VALU_DEP_2) | instskip(NEXT) | instid1(VALU_DEP_2)
	v_fma_f64 v[60:61], -v[52:53], v[56:57], 1.0
	v_fma_f64 v[54:55], v[54:55], v[58:59], v[54:55]
	v_div_scale_f64 v[58:59], s3, v[48:49], v[46:47], v[48:49]
	s_delay_alu instid0(VALU_DEP_3) | instskip(NEXT) | instid1(VALU_DEP_3)
	v_fma_f64 v[56:57], v[56:57], v[60:61], v[56:57]
	v_mul_f64 v[60:61], v[62:63], v[54:55]
	s_delay_alu instid0(VALU_DEP_2) | instskip(NEXT) | instid1(VALU_DEP_2)
	v_mul_f64 v[64:65], v[58:59], v[56:57]
	v_fma_f64 v[50:51], -v[50:51], v[60:61], v[62:63]
	s_delay_alu instid0(VALU_DEP_2) | instskip(NEXT) | instid1(VALU_DEP_2)
	v_fma_f64 v[52:53], -v[52:53], v[64:65], v[58:59]
	v_div_fmas_f64 v[50:51], v[50:51], v[54:55], v[60:61]
	s_mov_b32 vcc_lo, s3
	s_delay_alu instid0(VALU_DEP_2) | instskip(NEXT) | instid1(VALU_DEP_2)
	v_div_fmas_f64 v[52:53], v[52:53], v[56:57], v[64:65]
	v_div_fixup_f64 v[44:45], v[50:51], v[46:47], v[44:45]
	s_delay_alu instid0(VALU_DEP_2) | instskip(NEXT) | instid1(VALU_DEP_1)
	v_div_fixup_f64 v[52:53], v[52:53], v[46:47], v[48:49]
	v_mul_f64 v[46:47], v[52:53], v[48:49]
	s_delay_alu instid0(VALU_DEP_1) | instskip(NEXT) | instid1(VALU_DEP_1)
	v_fma_f64 v[42:43], v[44:45], v[42:43], -v[46:47]
	v_cvt_f32_f64_e32 v32, v[42:43]
.LBB17_112:                             ;   in Loop: Header=BB17_53 Depth=2
	s_or_b32 exec_lo, exec_lo, s4
	v_cmp_nle_f32_e64 s3, 0, v34
	s_mov_b32 s59, exec_lo
                                        ; implicit-def: $vgpr42
	s_delay_alu instid0(VALU_DEP_1) | instskip(NEXT) | instid1(VALU_DEP_1)
	v_cndmask_b32_e64 v35, v35, -v35, s3
	v_add_f32_e32 v34, v34, v35
                                        ; implicit-def: $vgpr35
	s_delay_alu instid0(VALU_DEP_1)
	v_cmpx_ngt_f32_e64 |v34|, |v33|
	s_xor_b32 s59, exec_lo, s59
	s_cbranch_execz .LBB17_116
; %bb.113:                              ;   in Loop: Header=BB17_53 Depth=2
	v_dual_mov_b32 v35, 1.0 :: v_dual_mov_b32 v42, 0
	s_mov_b32 s60, exec_lo
	v_cmpx_neq_f32_e32 0, v33
	s_cbranch_execz .LBB17_115
; %bb.114:                              ;   in Loop: Header=BB17_53 Depth=2
	v_div_scale_f32 v35, null, v33, v33, -v34
	v_div_scale_f32 v44, vcc_lo, -v34, v33, -v34
	s_delay_alu instid0(VALU_DEP_2) | instskip(SKIP_2) | instid1(VALU_DEP_1)
	v_rcp_f32_e32 v42, v35
	s_waitcnt_depctr 0xfff
	v_fma_f32 v43, -v35, v42, 1.0
	v_fmac_f32_e32 v42, v43, v42
	s_delay_alu instid0(VALU_DEP_1) | instskip(NEXT) | instid1(VALU_DEP_1)
	v_mul_f32_e32 v43, v44, v42
	v_fma_f32 v45, -v35, v43, v44
	s_delay_alu instid0(VALU_DEP_1) | instskip(NEXT) | instid1(VALU_DEP_1)
	v_fmac_f32_e32 v43, v45, v42
	v_fma_f32 v35, -v35, v43, v44
	s_delay_alu instid0(VALU_DEP_1) | instskip(NEXT) | instid1(VALU_DEP_1)
	v_div_fmas_f32 v35, v35, v42, v43
	v_div_fixup_f32 v33, v35, v33, -v34
	s_delay_alu instid0(VALU_DEP_1) | instskip(NEXT) | instid1(VALU_DEP_1)
	v_fma_f32 v34, v33, v33, 1.0
	v_mul_f32_e32 v35, 0x4f800000, v34
	v_cmp_gt_f32_e32 vcc_lo, 0xf800000, v34
	s_delay_alu instid0(VALU_DEP_2) | instskip(NEXT) | instid1(VALU_DEP_1)
	v_cndmask_b32_e32 v34, v34, v35, vcc_lo
	v_sqrt_f32_e32 v35, v34
	s_waitcnt_depctr 0xfff
	v_add_nc_u32_e32 v42, -1, v35
	v_add_nc_u32_e32 v43, 1, v35
	s_delay_alu instid0(VALU_DEP_2) | instskip(NEXT) | instid1(VALU_DEP_2)
	v_fma_f32 v44, -v42, v35, v34
	v_fma_f32 v45, -v43, v35, v34
	s_delay_alu instid0(VALU_DEP_2) | instskip(NEXT) | instid1(VALU_DEP_1)
	v_cmp_ge_f32_e64 s4, 0, v44
	v_cndmask_b32_e64 v35, v35, v42, s4
	s_delay_alu instid0(VALU_DEP_3) | instskip(NEXT) | instid1(VALU_DEP_1)
	v_cmp_lt_f32_e64 s4, 0, v45
	v_cndmask_b32_e64 v35, v35, v43, s4
	s_delay_alu instid0(VALU_DEP_1) | instskip(NEXT) | instid1(VALU_DEP_1)
	v_mul_f32_e32 v42, 0x37800000, v35
	v_cndmask_b32_e32 v35, v35, v42, vcc_lo
	v_cmp_class_f32_e64 vcc_lo, v34, 0x260
	s_delay_alu instid0(VALU_DEP_2) | instskip(NEXT) | instid1(VALU_DEP_1)
	v_cndmask_b32_e32 v34, v35, v34, vcc_lo
	v_div_scale_f32 v35, null, v34, v34, 1.0
	s_delay_alu instid0(VALU_DEP_1) | instskip(SKIP_2) | instid1(VALU_DEP_1)
	v_rcp_f32_e32 v42, v35
	s_waitcnt_depctr 0xfff
	v_fma_f32 v43, -v35, v42, 1.0
	v_fmac_f32_e32 v42, v43, v42
	v_div_scale_f32 v43, vcc_lo, 1.0, v34, 1.0
	s_delay_alu instid0(VALU_DEP_1) | instskip(NEXT) | instid1(VALU_DEP_1)
	v_mul_f32_e32 v44, v43, v42
	v_fma_f32 v45, -v35, v44, v43
	s_delay_alu instid0(VALU_DEP_1) | instskip(NEXT) | instid1(VALU_DEP_1)
	v_fmac_f32_e32 v44, v45, v42
	v_fma_f32 v35, -v35, v44, v43
	s_delay_alu instid0(VALU_DEP_1) | instskip(NEXT) | instid1(VALU_DEP_1)
	v_div_fmas_f32 v35, v35, v42, v44
	v_div_fixup_f32 v35, v35, v34, 1.0
	s_delay_alu instid0(VALU_DEP_1)
	v_mul_f32_e32 v42, v33, v35
.LBB17_115:                             ;   in Loop: Header=BB17_53 Depth=2
	s_or_b32 exec_lo, exec_lo, s60
                                        ; implicit-def: $vgpr34
                                        ; implicit-def: $vgpr33
.LBB17_116:                             ;   in Loop: Header=BB17_53 Depth=2
	s_and_not1_saveexec_b32 s59, s59
	s_cbranch_execz .LBB17_118
; %bb.117:                              ;   in Loop: Header=BB17_53 Depth=2
	v_div_scale_f32 v35, null, v34, v34, -v33
	v_div_scale_f32 v44, vcc_lo, -v33, v34, -v33
	s_delay_alu instid0(VALU_DEP_2) | instskip(SKIP_2) | instid1(VALU_DEP_1)
	v_rcp_f32_e32 v42, v35
	s_waitcnt_depctr 0xfff
	v_fma_f32 v43, -v35, v42, 1.0
	v_fmac_f32_e32 v42, v43, v42
	s_delay_alu instid0(VALU_DEP_1) | instskip(NEXT) | instid1(VALU_DEP_1)
	v_mul_f32_e32 v43, v44, v42
	v_fma_f32 v45, -v35, v43, v44
	s_delay_alu instid0(VALU_DEP_1) | instskip(NEXT) | instid1(VALU_DEP_1)
	v_fmac_f32_e32 v43, v45, v42
	v_fma_f32 v35, -v35, v43, v44
	s_delay_alu instid0(VALU_DEP_1) | instskip(NEXT) | instid1(VALU_DEP_1)
	v_div_fmas_f32 v35, v35, v42, v43
	v_div_fixup_f32 v33, v35, v34, -v33
	s_delay_alu instid0(VALU_DEP_1) | instskip(NEXT) | instid1(VALU_DEP_1)
	v_fma_f32 v34, v33, v33, 1.0
	v_mul_f32_e32 v35, 0x4f800000, v34
	v_cmp_gt_f32_e32 vcc_lo, 0xf800000, v34
	s_delay_alu instid0(VALU_DEP_2) | instskip(NEXT) | instid1(VALU_DEP_1)
	v_cndmask_b32_e32 v34, v34, v35, vcc_lo
	v_sqrt_f32_e32 v35, v34
	s_waitcnt_depctr 0xfff
	v_add_nc_u32_e32 v42, -1, v35
	v_add_nc_u32_e32 v43, 1, v35
	s_delay_alu instid0(VALU_DEP_2) | instskip(NEXT) | instid1(VALU_DEP_2)
	v_fma_f32 v44, -v42, v35, v34
	v_fma_f32 v45, -v43, v35, v34
	s_delay_alu instid0(VALU_DEP_2) | instskip(NEXT) | instid1(VALU_DEP_1)
	v_cmp_ge_f32_e64 s4, 0, v44
	v_cndmask_b32_e64 v35, v35, v42, s4
	s_delay_alu instid0(VALU_DEP_3) | instskip(NEXT) | instid1(VALU_DEP_1)
	v_cmp_lt_f32_e64 s4, 0, v45
	v_cndmask_b32_e64 v35, v35, v43, s4
	s_delay_alu instid0(VALU_DEP_1) | instskip(NEXT) | instid1(VALU_DEP_1)
	v_mul_f32_e32 v42, 0x37800000, v35
	v_cndmask_b32_e32 v35, v35, v42, vcc_lo
	v_cmp_class_f32_e64 vcc_lo, v34, 0x260
	s_delay_alu instid0(VALU_DEP_2) | instskip(NEXT) | instid1(VALU_DEP_1)
	v_cndmask_b32_e32 v34, v35, v34, vcc_lo
	v_div_scale_f32 v35, null, v34, v34, 1.0
	s_delay_alu instid0(VALU_DEP_1) | instskip(SKIP_2) | instid1(VALU_DEP_1)
	v_rcp_f32_e32 v42, v35
	s_waitcnt_depctr 0xfff
	v_fma_f32 v43, -v35, v42, 1.0
	v_fmac_f32_e32 v42, v43, v42
	v_div_scale_f32 v43, vcc_lo, 1.0, v34, 1.0
	s_delay_alu instid0(VALU_DEP_1) | instskip(NEXT) | instid1(VALU_DEP_1)
	v_mul_f32_e32 v44, v43, v42
	v_fma_f32 v45, -v35, v44, v43
	s_delay_alu instid0(VALU_DEP_1) | instskip(NEXT) | instid1(VALU_DEP_1)
	v_fmac_f32_e32 v44, v45, v42
	v_fma_f32 v35, -v35, v44, v43
	s_delay_alu instid0(VALU_DEP_1) | instskip(NEXT) | instid1(VALU_DEP_1)
	v_div_fmas_f32 v35, v35, v42, v44
	v_div_fixup_f32 v42, v35, v34, 1.0
	s_delay_alu instid0(VALU_DEP_1)
	v_mul_f32_e32 v35, v33, v42
.LBB17_118:                             ;   in Loop: Header=BB17_53 Depth=2
	s_or_b32 exec_lo, exec_lo, s59
	v_cndmask_b32_e64 v33, 1, -1, s3
	v_add_co_u32 v29, s3, s72, v29
	s_delay_alu instid0(VALU_DEP_1) | instskip(NEXT) | instid1(VALU_DEP_3)
	v_add_co_ci_u32_e64 v30, s3, s73, v30, s3
	v_cmp_eq_u32_e32 vcc_lo, v36, v33
	v_add_nc_u32_e32 v24, 2, v24
	v_cndmask_b32_e32 v36, v42, v35, vcc_lo
	v_cndmask_b32_e64 v35, v35, -v42, vcc_lo
	v_add_co_u32 v33, vcc_lo, v29, s46
	v_add_co_ci_u32_e32 v34, vcc_lo, s47, v30, vcc_lo
	s_clause 0x1
	global_store_b32 v[29:30], v35, off
	global_store_b32 v[33:34], v36, off offset:-4
	global_store_b64 v[25:26], v[31:32], off
	global_store_b32 v[27:28], v0, off
	ds_store_b32 v0, v24
	s_or_b32 exec_lo, exec_lo, s58
                                        ; implicit-def: $vgpr28
.LBB17_119:                             ;   in Loop: Header=BB17_53 Depth=2
	s_and_not1_saveexec_b32 s3, s66
	s_cbranch_execz .LBB17_121
.LBB17_120:                             ;   in Loop: Header=BB17_53 Depth=2
	ds_store_b32 v0, v28
.LBB17_121:                             ;   in Loop: Header=BB17_53 Depth=2
	s_or_b32 exec_lo, exec_lo, s3
.LBB17_122:                             ;   in Loop: Header=BB17_53 Depth=2
	s_delay_alu instid0(SALU_CYCLE_1)
	s_or_b32 exec_lo, exec_lo, s37
	s_waitcnt lgkmcnt(0)
	s_waitcnt_vscnt null, 0x0
	s_barrier
	buffer_gl0_inv
	ds_load_b64 v[24:25], v0
	s_waitcnt lgkmcnt(0)
	v_readfirstlane_b32 s3, v25
	s_delay_alu instid0(VALU_DEP_1)
	v_cmp_eq_u32_e32 vcc_lo, s3, v24
	v_mov_b32_e32 v24, s3
	s_cbranch_vccnz .LBB17_52
; %bb.123:                              ;   in Loop: Header=BB17_53 Depth=2
	s_and_saveexec_b32 s37, s0
	s_cbranch_execz .LBB17_51
; %bb.124:                              ;   in Loop: Header=BB17_53 Depth=2
	ds_load_b32 v24, v0 offset:16
	v_mov_b32_e32 v28, v1
	s_waitcnt lgkmcnt(0)
	v_readfirstlane_b32 s4, v24
	v_ashrrev_i32_e32 v25, 31, v24
	s_delay_alu instid0(VALU_DEP_2) | instskip(NEXT) | instid1(VALU_DEP_1)
	s_mul_i32 s58, s4, s11
	v_lshlrev_b64 v[24:25], 2, v[24:25]
	s_ashr_i32 s59, s58, 31
	s_delay_alu instid0(SALU_CYCLE_1) | instskip(NEXT) | instid1(SALU_CYCLE_1)
	s_lshl_b64 s[64:65], s[58:59], 3
	s_add_u32 s58, s70, s64
	s_addc_u32 s59, s71, s65
	s_sub_i32 s60, s3, s4
	s_delay_alu instid0(SALU_CYCLE_1) | instskip(SKIP_1) | instid1(SALU_CYCLE_1)
	s_mul_hi_i32 s63, s60, s40
	s_mul_i32 s62, s60, s40
	s_lshl_b64 s[62:63], s[62:63], 3
	s_delay_alu instid0(SALU_CYCLE_1) | instskip(SKIP_4) | instid1(SALU_CYCLE_1)
	s_add_u32 s61, s58, s62
	s_addc_u32 s62, s59, s63
	s_cmp_gt_i32 s60, 0
	s_cselect_b32 s63, -1, 0
	s_add_i32 s4, s60, -1
	s_lshl_b64 s[66:67], s[4:5], 2
	s_mul_i32 s3, s53, s4
	s_mul_hi_u32 s68, s52, s4
	s_mul_i32 s4, s52, s4
	v_add_co_u32 v26, vcc_lo, v24, s66
	s_add_i32 s68, s68, s3
	s_add_u32 s3, s4, s64
	v_add_co_ci_u32_e32 v27, vcc_lo, s67, v25, vcc_lo
	s_addc_u32 s4, s68, s65
	v_add_co_u32 v24, vcc_lo, v38, s3
	v_add_co_ci_u32_e32 v25, vcc_lo, s4, v39, vcc_lo
	v_add_co_u32 v26, vcc_lo, s72, v26
	v_add_co_ci_u32_e32 v27, vcc_lo, s73, v27, vcc_lo
	s_mov_b32 s4, 0
	s_branch .LBB17_126
.LBB17_125:                             ;   in Loop: Header=BB17_126 Depth=3
	v_add_nc_u32_e32 v28, s30, v28
	v_add_co_u32 v24, s3, v24, s54
	s_delay_alu instid0(VALU_DEP_1) | instskip(NEXT) | instid1(VALU_DEP_3)
	v_add_co_ci_u32_e64 v25, s3, s55, v25, s3
	v_cmp_le_i32_e32 vcc_lo, s6, v28
	s_waitcnt vmcnt(0)
	global_store_b64 v[29:30], v[31:32], off
	s_or_b32 s4, vcc_lo, s4
	s_delay_alu instid0(SALU_CYCLE_1)
	s_and_not1_b32 exec_lo, exec_lo, s4
	s_cbranch_execz .LBB17_51
.LBB17_126:                             ;   Parent Loop BB17_7 Depth=1
                                        ;     Parent Loop BB17_53 Depth=2
                                        ; =>    This Loop Header: Depth=3
                                        ;         Child Loop BB17_127 Depth 4
	v_ashrrev_i32_e32 v29, 31, v28
	v_dual_mov_b32 v34, v25 :: v_dual_mov_b32 v33, v24
	v_dual_mov_b32 v36, v27 :: v_dual_mov_b32 v35, v26
	s_delay_alu instid0(VALU_DEP_3) | instskip(SKIP_1) | instid1(VALU_DEP_1)
	v_lshlrev_b64 v[29:30], 3, v[28:29]
	s_mov_b32 s3, s60
	v_add_co_u32 v31, vcc_lo, s61, v29
	s_delay_alu instid0(VALU_DEP_2)
	v_add_co_ci_u32_e32 v32, vcc_lo, s62, v30, vcc_lo
	v_add_co_u32 v29, vcc_lo, s58, v29
	v_add_co_ci_u32_e32 v30, vcc_lo, s59, v30, vcc_lo
	global_load_b64 v[31:32], v[31:32], off
	s_and_not1_b32 vcc_lo, exec_lo, s63
	s_cbranch_vccnz .LBB17_125
	.p2align	6
.LBB17_127:                             ;   Parent Loop BB17_7 Depth=1
                                        ;     Parent Loop BB17_53 Depth=2
                                        ;       Parent Loop BB17_126 Depth=3
                                        ; =>      This Inner Loop Header: Depth=4
	v_add_co_u32 v42, vcc_lo, v35, s7
	v_add_co_ci_u32_e32 v43, vcc_lo, s78, v36, vcc_lo
	s_mul_i32 s65, s3, s41
	s_mul_hi_u32 s67, s3, s40
	global_load_b64 v[44:45], v[33:34], off offset:-4
	s_clause 0x1
	global_load_b32 v46, v[42:43], off
	global_load_b32 v47, v[35:36], off
	v_add_co_u32 v35, vcc_lo, v35, -4
	s_mul_i32 s64, s3, s40
	v_add_co_ci_u32_e32 v36, vcc_lo, -1, v36, vcc_lo
	s_add_i32 s65, s67, s65
	s_waitcnt vmcnt(3)
	v_dual_mov_b32 v48, v32 :: v_dual_mov_b32 v49, v31
	v_add_co_u32 v33, vcc_lo, v33, s31
	s_lshl_b64 s[64:65], s[64:65], 3
	v_add_co_ci_u32_e32 v34, vcc_lo, s79, v34, vcc_lo
	v_add_co_u32 v42, vcc_lo, v29, s64
	v_add_co_ci_u32_e32 v43, vcc_lo, s65, v30, vcc_lo
	s_add_i32 s66, s3, -1
	s_delay_alu instid0(SALU_CYCLE_1)
	s_cmp_eq_u32 s66, 0
	s_mov_b32 s3, s66
	s_waitcnt vmcnt(0)
	v_mul_f32_e32 v32, v47, v45
	v_mul_f32_e32 v31, v47, v44
	;; [unrolled: 1-line block ×3, first 2 shown]
	s_delay_alu instid0(VALU_DEP_3) | instskip(NEXT) | instid1(VALU_DEP_3)
	v_dual_mul_f32 v45, v46, v45 :: v_dual_fmac_f32 v32, v48, v46
	v_fmac_f32_e32 v31, v49, v46
	s_delay_alu instid0(VALU_DEP_3) | instskip(NEXT) | instid1(VALU_DEP_3)
	v_fma_f32 v44, v49, v47, -v44
	v_fma_f32 v45, v48, v47, -v45
	global_store_b64 v[42:43], v[44:45], off
	s_cbranch_scc0 .LBB17_127
	s_branch .LBB17_125
.LBB17_128:                             ;   in Loop: Header=BB17_53 Depth=2
	s_or_b32 exec_lo, exec_lo, s58
                                        ; implicit-def: $vgpr28
	s_and_not1_saveexec_b32 s3, s66
	s_cbranch_execnz .LBB17_120
	s_branch .LBB17_121
.LBB17_129:                             ;   in Loop: Header=BB17_7 Depth=1
	v_dual_mov_b32 v23, v15 :: v_dual_mov_b32 v22, v14
	v_dual_mov_b32 v21, v13 :: v_dual_mov_b32 v20, v12
	v_mov_b32_e32 v17, v41
	s_branch .LBB17_6
.LBB17_130:                             ;   in Loop: Header=BB17_7 Depth=1
                                        ; implicit-def: $vgpr22_vgpr23
                                        ; implicit-def: $vgpr20_vgpr21
                                        ; implicit-def: $vgpr17
	s_branch .LBB17_133
.LBB17_131:                             ;   in Loop: Header=BB17_133 Depth=2
	s_or_b32 exec_lo, exec_lo, s3
	s_waitcnt_vscnt null, 0x0
	s_barrier
	buffer_gl0_inv
	ds_load_b32 v16, v0
.LBB17_132:                             ;   in Loop: Header=BB17_133 Depth=2
	ds_load_2addr_b32 v[18:19], v0 offset0:5 offset1:7
	s_waitcnt lgkmcnt(0)
	v_cmp_ge_i32_e32 vcc_lo, v16, v18
	v_cmp_gt_i32_e64 s1, s24, v19
	s_delay_alu instid0(VALU_DEP_1)
	s_and_b32 s1, vcc_lo, s1
.LBB17_133:                             ;   Parent Loop BB17_7 Depth=1
                                        ; =>  This Loop Header: Depth=2
                                        ;       Child Loop BB17_142 Depth 3
                                        ;       Child Loop BB17_161 Depth 3
	;; [unrolled: 1-line block ×3, first 2 shown]
                                        ;         Child Loop BB17_208 Depth 4
	s_delay_alu instid0(SALU_CYCLE_1)
	s_and_not1_b32 vcc_lo, exec_lo, s1
	s_cbranch_vccnz .LBB17_210
; %bb.134:                              ;   in Loop: Header=BB17_133 Depth=2
	s_and_saveexec_b32 s4, s2
	s_cbranch_execz .LBB17_203
; %bb.135:                              ;   in Loop: Header=BB17_133 Depth=2
	v_cmp_gt_i32_e32 vcc_lo, v16, v18
	s_mov_b32 s1, 0
	s_cbranch_vccnz .LBB17_139
; %bb.136:                              ;   in Loop: Header=BB17_133 Depth=2
	v_ashrrev_i32_e32 v17, 31, v16
	s_mov_b32 s3, -1
	s_delay_alu instid0(VALU_DEP_1)
	v_dual_mov_b32 v22, v17 :: v_dual_mov_b32 v21, v16
	v_mov_b32_e32 v20, v16
	s_cbranch_execz .LBB17_140
; %bb.137:                              ;   in Loop: Header=BB17_133 Depth=2
	s_and_b32 vcc_lo, exec_lo, s3
	s_cbranch_vccz .LBB17_145
.LBB17_138:                             ;   in Loop: Header=BB17_133 Depth=2
	ds_store_2addr_b32 v0, v20, v16 offset0:1 offset1:4
	s_cbranch_execz .LBB17_146
	s_branch .LBB17_147
.LBB17_139:                             ;   in Loop: Header=BB17_133 Depth=2
	s_mov_b32 s3, 0
                                        ; implicit-def: $vgpr21_vgpr22
	v_mov_b32_e32 v20, v16
.LBB17_140:                             ;   in Loop: Header=BB17_133 Depth=2
	v_ashrrev_i32_e32 v17, 31, v16
	v_mov_b32_e32 v22, v16
	s_delay_alu instid0(VALU_DEP_2) | instskip(NEXT) | instid1(VALU_DEP_1)
	v_lshlrev_b64 v[2:3], 2, v[16:17]
	v_add_co_u32 v4, vcc_lo, s80, v2
	s_delay_alu instid0(VALU_DEP_2)
	v_add_co_ci_u32_e32 v5, vcc_lo, s81, v3, vcc_lo
	v_add_co_u32 v20, vcc_lo, s10, v2
	v_add_co_ci_u32_e32 v21, vcc_lo, s33, v3, vcc_lo
	s_branch .LBB17_142
	.p2align	6
.LBB17_141:                             ;   in Loop: Header=BB17_142 Depth=3
	v_add_nc_u32_e32 v22, -1, v40
	v_add_co_u32 v4, vcc_lo, v4, -4
	v_add_co_ci_u32_e32 v5, vcc_lo, -1, v5, vcc_lo
	s_delay_alu instid0(VALU_DEP_3) | instskip(SKIP_2) | instid1(VALU_DEP_2)
	v_cmp_le_i32_e64 s3, v22, v18
	s_mov_b32 s1, 0
	v_dual_mov_b32 v21, v3 :: v_dual_mov_b32 v20, v2
	s_and_not1_b32 vcc_lo, exec_lo, s3
	s_cbranch_vccz .LBB17_144
.LBB17_142:                             ;   Parent Loop BB17_7 Depth=1
                                        ;     Parent Loop BB17_133 Depth=2
                                        ; =>    This Inner Loop Header: Depth=3
	global_load_b64 v[2:3], v[4:5], off
	global_load_b32 v23, v[20:21], off offset:-4
	v_mov_b32_e32 v40, v22
	s_waitcnt vmcnt(1)
	v_mul_f32_e32 v2, v3, v2
	s_waitcnt vmcnt(0)
	v_mul_f32_e32 v3, v23, v23
	s_delay_alu instid0(VALU_DEP_2) | instskip(NEXT) | instid1(VALU_DEP_1)
	v_mul_f32_e64 v2, v37, |v2|
	v_cmp_le_f32_e64 s1, |v3|, v2
	v_add_co_u32 v2, vcc_lo, v20, -4
	v_add_co_ci_u32_e32 v3, vcc_lo, -1, v21, vcc_lo
	s_delay_alu instid0(VALU_DEP_3)
	s_and_b32 vcc_lo, exec_lo, s1
	s_cbranch_vccz .LBB17_141
; %bb.143:                              ;   in Loop: Header=BB17_133 Depth=2
	s_mov_b32 s1, -1
                                        ; implicit-def: $vgpr22
                                        ; implicit-def: $vgpr4_vgpr5
	s_delay_alu instid0(VALU_DEP_1)
	v_dual_mov_b32 v21, v3 :: v_dual_mov_b32 v20, v2
.LBB17_144:                             ;   in Loop: Header=BB17_133 Depth=2
	v_mov_b32_e32 v22, v17
	v_dual_mov_b32 v4, v16 :: v_dual_mov_b32 v5, v17
	v_dual_mov_b32 v20, v18 :: v_dual_mov_b32 v21, v16
	s_xor_b32 s3, s1, -1
	s_mov_b32 s1, -1
	s_and_b32 vcc_lo, exec_lo, s3
	s_cbranch_vccnz .LBB17_138
.LBB17_145:                             ;   in Loop: Header=BB17_133 Depth=2
                                        ; implicit-def: $vgpr20
                                        ; implicit-def: $vgpr21_vgpr22
	s_and_not1_b32 vcc_lo, exec_lo, s1
	s_cbranch_vccnz .LBB17_147
.LBB17_146:                             ;   in Loop: Header=BB17_133 Depth=2
	v_dual_mov_b32 v22, v5 :: v_dual_mov_b32 v21, v4
	v_mov_b32_e32 v20, v40
	ds_store_2addr_b32 v0, v40, v16 offset0:1 offset1:4
	global_store_b32 v[2:3], v0, off
.LBB17_147:                             ;   in Loop: Header=BB17_133 Depth=2
	v_lshlrev_b64 v[22:23], 2, v[21:22]
	v_add_nc_u32_e32 v21, -1, v16
	s_mov_b32 s1, exec_lo
	s_delay_alu instid0(VALU_DEP_2) | instskip(NEXT) | instid1(VALU_DEP_3)
	v_add_co_u32 v17, vcc_lo, s18, v22
	v_add_co_ci_u32_e32 v18, vcc_lo, s19, v23, vcc_lo
	global_load_b32 v28, v[17:18], off
	s_waitcnt vmcnt(0)
	ds_store_b32 v0, v28 offset:8
	v_cmpx_ne_u32_e64 v20, v16
	s_xor_b32 s37, exec_lo, s1
	s_cbranch_execz .LBB17_200
; %bb.148:                              ;   in Loop: Header=BB17_133 Depth=2
	s_mov_b32 s1, exec_lo
	v_cmpx_ne_u32_e64 v20, v21
	s_xor_b32 s3, exec_lo, s1
	s_cbranch_execz .LBB17_176
; %bb.149:                              ;   in Loop: Header=BB17_133 Depth=2
	v_add_co_u32 v22, vcc_lo, s42, v22
	v_add_co_ci_u32_e32 v23, vcc_lo, s43, v23, vcc_lo
	v_ashrrev_i32_e32 v21, 31, v20
	s_mov_b32 s58, exec_lo
	global_load_b32 v30, v[17:18], off offset:-4
	global_load_b32 v31, v[22:23], off
	v_lshlrev_b64 v[26:27], 2, v[20:21]
	s_delay_alu instid0(VALU_DEP_1) | instskip(NEXT) | instid1(VALU_DEP_2)
	v_add_co_u32 v24, vcc_lo, s18, v26
	v_add_co_ci_u32_e32 v25, vcc_lo, s19, v27, vcc_lo
	global_load_b32 v29, v[24:25], off
	s_waitcnt vmcnt(1)
	v_dual_sub_f32 v21, v30, v28 :: v_dual_add_f32 v30, v31, v31
	s_delay_alu instid0(VALU_DEP_1) | instskip(SKIP_1) | instid1(VALU_DEP_2)
	v_div_scale_f32 v32, null, v30, v30, v21
	v_div_scale_f32 v35, vcc_lo, v21, v30, v21
	v_rcp_f32_e32 v33, v32
	s_waitcnt_depctr 0xfff
	v_fma_f32 v34, -v32, v33, 1.0
	s_delay_alu instid0(VALU_DEP_1) | instskip(NEXT) | instid1(VALU_DEP_1)
	v_fmac_f32_e32 v33, v34, v33
	v_mul_f32_e32 v34, v35, v33
	s_delay_alu instid0(VALU_DEP_1) | instskip(NEXT) | instid1(VALU_DEP_1)
	v_fma_f32 v36, -v32, v34, v35
	v_fmac_f32_e32 v34, v36, v33
	s_delay_alu instid0(VALU_DEP_1) | instskip(NEXT) | instid1(VALU_DEP_1)
	v_fma_f32 v32, -v32, v34, v35
	v_div_fmas_f32 v32, v32, v33, v34
	s_delay_alu instid0(VALU_DEP_1) | instskip(NEXT) | instid1(VALU_DEP_1)
	v_div_fixup_f32 v21, v32, v30, v21
	v_fma_f32 v30, v21, v21, 1.0
	s_delay_alu instid0(VALU_DEP_1) | instskip(SKIP_1) | instid1(VALU_DEP_2)
	v_mul_f32_e32 v32, 0x4f800000, v30
	v_cmp_gt_f32_e32 vcc_lo, 0xf800000, v30
	v_cndmask_b32_e32 v30, v30, v32, vcc_lo
	s_delay_alu instid0(VALU_DEP_1) | instskip(SKIP_3) | instid1(VALU_DEP_2)
	v_sqrt_f32_e32 v32, v30
	s_waitcnt_depctr 0xfff
	v_add_nc_u32_e32 v33, -1, v32
	v_add_nc_u32_e32 v34, 1, v32
	v_fma_f32 v35, -v33, v32, v30
	s_delay_alu instid0(VALU_DEP_2) | instskip(NEXT) | instid1(VALU_DEP_2)
	v_fma_f32 v36, -v34, v32, v30
	v_cmp_ge_f32_e64 s1, 0, v35
	s_delay_alu instid0(VALU_DEP_1) | instskip(NEXT) | instid1(VALU_DEP_3)
	v_cndmask_b32_e64 v32, v32, v33, s1
	v_cmp_lt_f32_e64 s1, 0, v36
	s_delay_alu instid0(VALU_DEP_1) | instskip(NEXT) | instid1(VALU_DEP_1)
	v_cndmask_b32_e64 v32, v32, v34, s1
	v_mul_f32_e32 v33, 0x37800000, v32
	s_delay_alu instid0(VALU_DEP_1) | instskip(SKIP_1) | instid1(VALU_DEP_2)
	v_cndmask_b32_e32 v32, v32, v33, vcc_lo
	v_cmp_class_f32_e64 vcc_lo, v30, 0x260
	v_cndmask_b32_e32 v30, v32, v30, vcc_lo
	v_cmp_nle_f32_e32 vcc_lo, 0, v21
	s_delay_alu instid0(VALU_DEP_2) | instskip(NEXT) | instid1(VALU_DEP_1)
	v_cndmask_b32_e64 v30, |v30|, -|v30|, vcc_lo
	v_add_f32_e32 v21, v21, v30
	s_delay_alu instid0(VALU_DEP_1) | instskip(SKIP_1) | instid1(VALU_DEP_2)
	v_div_scale_f32 v30, null, v21, v21, v31
	v_div_scale_f32 v34, vcc_lo, v31, v21, v31
	v_rcp_f32_e32 v32, v30
	s_waitcnt_depctr 0xfff
	v_fma_f32 v33, -v30, v32, 1.0
	s_delay_alu instid0(VALU_DEP_1) | instskip(NEXT) | instid1(VALU_DEP_1)
	v_fmac_f32_e32 v32, v33, v32
	v_mul_f32_e32 v33, v34, v32
	s_delay_alu instid0(VALU_DEP_1) | instskip(NEXT) | instid1(VALU_DEP_1)
	v_fma_f32 v35, -v30, v33, v34
	v_fmac_f32_e32 v33, v35, v32
	s_delay_alu instid0(VALU_DEP_1) | instskip(NEXT) | instid1(VALU_DEP_1)
	v_fma_f32 v30, -v30, v33, v34
	v_div_fmas_f32 v30, v30, v32, v33
	s_waitcnt vmcnt(0)
	v_sub_f32_e32 v32, v29, v28
	s_delay_alu instid0(VALU_DEP_2) | instskip(SKIP_1) | instid1(VALU_DEP_2)
	v_div_fixup_f32 v21, v30, v21, v31
	v_dual_mov_b32 v30, 0 :: v_dual_add_nc_u32 v31, 1, v19
	v_add_f32_e32 v19, v32, v21
	ds_store_2addr_b32 v0, v0, v31 offset0:2 offset1:7
	v_cmpx_lt_i32_e64 v20, v16
	s_cbranch_execz .LBB17_175
; %bb.150:                              ;   in Loop: Header=BB17_133 Depth=2
	v_add_co_u32 v30, vcc_lo, s10, v26
	v_add_co_ci_u32_e32 v31, vcc_lo, s33, v27, vcc_lo
	v_mov_b32_e32 v21, 1.0
	v_mov_b32_e32 v33, 0
	s_mov_b32 s59, exec_lo
	global_load_b32 v31, v[30:31], off
	s_waitcnt vmcnt(0)
	v_cmpx_neq_f32_e32 0, v31
	s_cbranch_execz .LBB17_158
; %bb.151:                              ;   in Loop: Header=BB17_133 Depth=2
	v_mov_b32_e32 v33, 1.0
	v_mov_b32_e32 v21, 0
	s_mov_b32 s60, exec_lo
	v_cmpx_neq_f32_e32 0, v19
	s_cbranch_execz .LBB17_157
; %bb.152:                              ;   in Loop: Header=BB17_133 Depth=2
	s_mov_b32 s61, exec_lo
                                        ; implicit-def: $vgpr33
                                        ; implicit-def: $vgpr21
	v_cmpx_ngt_f32_e64 |v31|, |v19|
	s_xor_b32 s61, exec_lo, s61
	s_cbranch_execz .LBB17_154
; %bb.153:                              ;   in Loop: Header=BB17_133 Depth=2
	v_div_scale_f32 v21, null, v19, v19, -v31
	v_div_scale_f32 v32, vcc_lo, -v31, v19, -v31
	s_delay_alu instid0(VALU_DEP_2) | instskip(SKIP_2) | instid1(VALU_DEP_1)
	v_rcp_f32_e32 v28, v21
	s_waitcnt_depctr 0xfff
	v_fma_f32 v30, -v21, v28, 1.0
	v_fmac_f32_e32 v28, v30, v28
	s_delay_alu instid0(VALU_DEP_1) | instskip(NEXT) | instid1(VALU_DEP_1)
	v_mul_f32_e32 v30, v32, v28
	v_fma_f32 v33, -v21, v30, v32
	s_delay_alu instid0(VALU_DEP_1) | instskip(NEXT) | instid1(VALU_DEP_1)
	v_fmac_f32_e32 v30, v33, v28
	v_fma_f32 v21, -v21, v30, v32
	s_delay_alu instid0(VALU_DEP_1) | instskip(NEXT) | instid1(VALU_DEP_1)
	v_div_fmas_f32 v21, v21, v28, v30
	v_div_fixup_f32 v19, v21, v19, -v31
	s_delay_alu instid0(VALU_DEP_1) | instskip(NEXT) | instid1(VALU_DEP_1)
	v_fma_f32 v21, v19, v19, 1.0
	v_mul_f32_e32 v28, 0x4f800000, v21
	v_cmp_gt_f32_e32 vcc_lo, 0xf800000, v21
	s_delay_alu instid0(VALU_DEP_2) | instskip(NEXT) | instid1(VALU_DEP_1)
	v_cndmask_b32_e32 v21, v21, v28, vcc_lo
	v_sqrt_f32_e32 v28, v21
	s_waitcnt_depctr 0xfff
	v_add_nc_u32_e32 v30, -1, v28
	v_add_nc_u32_e32 v32, 1, v28
	s_delay_alu instid0(VALU_DEP_2) | instskip(NEXT) | instid1(VALU_DEP_2)
	v_fma_f32 v33, -v30, v28, v21
	v_fma_f32 v34, -v32, v28, v21
	s_delay_alu instid0(VALU_DEP_2) | instskip(NEXT) | instid1(VALU_DEP_1)
	v_cmp_ge_f32_e64 s1, 0, v33
	v_cndmask_b32_e64 v28, v28, v30, s1
	s_delay_alu instid0(VALU_DEP_3) | instskip(NEXT) | instid1(VALU_DEP_1)
	v_cmp_lt_f32_e64 s1, 0, v34
	v_cndmask_b32_e64 v28, v28, v32, s1
	s_delay_alu instid0(VALU_DEP_1) | instskip(NEXT) | instid1(VALU_DEP_1)
	v_mul_f32_e32 v30, 0x37800000, v28
	v_cndmask_b32_e32 v28, v28, v30, vcc_lo
	v_cmp_class_f32_e64 vcc_lo, v21, 0x260
	s_delay_alu instid0(VALU_DEP_2) | instskip(NEXT) | instid1(VALU_DEP_1)
	v_cndmask_b32_e32 v21, v28, v21, vcc_lo
	v_div_scale_f32 v28, null, v21, v21, 1.0
	s_delay_alu instid0(VALU_DEP_1) | instskip(SKIP_2) | instid1(VALU_DEP_1)
	v_rcp_f32_e32 v30, v28
	s_waitcnt_depctr 0xfff
	v_fma_f32 v32, -v28, v30, 1.0
	v_fmac_f32_e32 v30, v32, v30
	v_div_scale_f32 v32, vcc_lo, 1.0, v21, 1.0
	s_delay_alu instid0(VALU_DEP_1) | instskip(NEXT) | instid1(VALU_DEP_1)
	v_mul_f32_e32 v33, v32, v30
	v_fma_f32 v34, -v28, v33, v32
	s_delay_alu instid0(VALU_DEP_1) | instskip(NEXT) | instid1(VALU_DEP_1)
	v_fmac_f32_e32 v33, v34, v30
	v_fma_f32 v28, -v28, v33, v32
	s_delay_alu instid0(VALU_DEP_1) | instskip(NEXT) | instid1(VALU_DEP_1)
	v_div_fmas_f32 v28, v28, v30, v33
	v_div_fixup_f32 v21, v28, v21, 1.0
	s_delay_alu instid0(VALU_DEP_1)
	v_mul_f32_e32 v33, v19, v21
                                        ; implicit-def: $vgpr19
.LBB17_154:                             ;   in Loop: Header=BB17_133 Depth=2
	s_and_not1_saveexec_b32 s61, s61
	s_cbranch_execz .LBB17_156
; %bb.155:                              ;   in Loop: Header=BB17_133 Depth=2
	v_div_scale_f32 v21, null, v31, v31, -v19
	v_div_scale_f32 v32, vcc_lo, -v19, v31, -v19
	s_delay_alu instid0(VALU_DEP_2) | instskip(SKIP_2) | instid1(VALU_DEP_1)
	v_rcp_f32_e32 v28, v21
	s_waitcnt_depctr 0xfff
	v_fma_f32 v30, -v21, v28, 1.0
	v_fmac_f32_e32 v28, v30, v28
	s_delay_alu instid0(VALU_DEP_1) | instskip(NEXT) | instid1(VALU_DEP_1)
	v_mul_f32_e32 v30, v32, v28
	v_fma_f32 v33, -v21, v30, v32
	s_delay_alu instid0(VALU_DEP_1) | instskip(NEXT) | instid1(VALU_DEP_1)
	v_fmac_f32_e32 v30, v33, v28
	v_fma_f32 v21, -v21, v30, v32
	s_delay_alu instid0(VALU_DEP_1) | instskip(NEXT) | instid1(VALU_DEP_1)
	v_div_fmas_f32 v21, v21, v28, v30
	v_div_fixup_f32 v19, v21, v31, -v19
	s_delay_alu instid0(VALU_DEP_1) | instskip(NEXT) | instid1(VALU_DEP_1)
	v_fma_f32 v21, v19, v19, 1.0
	v_mul_f32_e32 v28, 0x4f800000, v21
	v_cmp_gt_f32_e32 vcc_lo, 0xf800000, v21
	s_delay_alu instid0(VALU_DEP_2) | instskip(NEXT) | instid1(VALU_DEP_1)
	v_cndmask_b32_e32 v21, v21, v28, vcc_lo
	v_sqrt_f32_e32 v28, v21
	s_waitcnt_depctr 0xfff
	v_add_nc_u32_e32 v30, -1, v28
	v_add_nc_u32_e32 v32, 1, v28
	s_delay_alu instid0(VALU_DEP_2) | instskip(NEXT) | instid1(VALU_DEP_2)
	v_fma_f32 v33, -v30, v28, v21
	v_fma_f32 v34, -v32, v28, v21
	s_delay_alu instid0(VALU_DEP_2) | instskip(NEXT) | instid1(VALU_DEP_1)
	v_cmp_ge_f32_e64 s1, 0, v33
	v_cndmask_b32_e64 v28, v28, v30, s1
	s_delay_alu instid0(VALU_DEP_3) | instskip(NEXT) | instid1(VALU_DEP_1)
	v_cmp_lt_f32_e64 s1, 0, v34
	v_cndmask_b32_e64 v28, v28, v32, s1
	s_delay_alu instid0(VALU_DEP_1) | instskip(NEXT) | instid1(VALU_DEP_1)
	v_mul_f32_e32 v30, 0x37800000, v28
	v_cndmask_b32_e32 v28, v28, v30, vcc_lo
	v_cmp_class_f32_e64 vcc_lo, v21, 0x260
	s_delay_alu instid0(VALU_DEP_2) | instskip(NEXT) | instid1(VALU_DEP_1)
	v_cndmask_b32_e32 v21, v28, v21, vcc_lo
	v_div_scale_f32 v28, null, v21, v21, 1.0
	s_delay_alu instid0(VALU_DEP_1) | instskip(SKIP_2) | instid1(VALU_DEP_1)
	v_rcp_f32_e32 v30, v28
	s_waitcnt_depctr 0xfff
	v_fma_f32 v32, -v28, v30, 1.0
	v_fmac_f32_e32 v30, v32, v30
	v_div_scale_f32 v32, vcc_lo, 1.0, v21, 1.0
	s_delay_alu instid0(VALU_DEP_1) | instskip(NEXT) | instid1(VALU_DEP_1)
	v_mul_f32_e32 v33, v32, v30
	v_fma_f32 v34, -v28, v33, v32
	s_delay_alu instid0(VALU_DEP_1) | instskip(NEXT) | instid1(VALU_DEP_1)
	v_fmac_f32_e32 v33, v34, v30
	v_fma_f32 v28, -v28, v33, v32
	s_delay_alu instid0(VALU_DEP_1) | instskip(NEXT) | instid1(VALU_DEP_1)
	v_div_fmas_f32 v28, v28, v30, v33
	v_div_fixup_f32 v33, v28, v21, 1.0
	s_delay_alu instid0(VALU_DEP_1)
	v_mul_f32_e32 v21, v19, v33
.LBB17_156:                             ;   in Loop: Header=BB17_133 Depth=2
	s_or_b32 exec_lo, exec_lo, s61
.LBB17_157:                             ;   in Loop: Header=BB17_133 Depth=2
	s_delay_alu instid0(SALU_CYCLE_1)
	s_or_b32 exec_lo, exec_lo, s60
.LBB17_158:                             ;   in Loop: Header=BB17_133 Depth=2
	s_delay_alu instid0(SALU_CYCLE_1)
	s_or_b32 exec_lo, exec_lo, s59
	global_load_b32 v19, v[24:25], off offset:4
	v_add_f32_e32 v30, v21, v21
	v_add_co_u32 v26, vcc_lo, s72, v26
	v_add_co_ci_u32_e32 v27, vcc_lo, s73, v27, vcc_lo
	v_xor_b32_e32 v32, 0x80000000, v33
	s_mov_b32 s59, exec_lo
	s_waitcnt vmcnt(0)
	v_dual_sub_f32 v19, v19, v29 :: v_dual_add_nc_u32 v28, 1, v20
	s_delay_alu instid0(VALU_DEP_1) | instskip(NEXT) | instid1(VALU_DEP_1)
	v_mul_f32_e32 v19, v33, v19
	v_fma_f32 v19, v31, v30, -v19
	s_delay_alu instid0(VALU_DEP_1)
	v_mul_f32_e64 v30, v19, -v33
	v_fma_f32 v29, v19, -v33, v29
	v_add_co_u32 v33, vcc_lo, v26, s46
	v_fma_f32 v19, v21, v19, -v31
	v_add_co_ci_u32_e32 v34, vcc_lo, s47, v27, vcc_lo
	ds_store_b32 v0, v30 offset:8
	global_store_b32 v[24:25], v29, off
	s_clause 0x1
	global_store_b32 v[26:27], v21, off
	global_store_b32 v[33:34], v32, off offset:-4
	v_cmpx_lt_i32_e64 v28, v16
	s_cbranch_execz .LBB17_174
; %bb.159:                              ;   in Loop: Header=BB17_133 Depth=2
	v_ashrrev_i32_e32 v29, 31, v28
	s_mov_b32 s61, 1
	s_mov_b32 s60, 0
	s_delay_alu instid0(VALU_DEP_1) | instskip(NEXT) | instid1(VALU_DEP_1)
	v_lshlrev_b64 v[28:29], 2, v[28:29]
	v_add_co_u32 v24, vcc_lo, s72, v28
	s_delay_alu instid0(VALU_DEP_2)
	v_add_co_ci_u32_e32 v25, vcc_lo, s73, v29, vcc_lo
	v_add_co_u32 v26, vcc_lo, s42, v28
	v_add_co_ci_u32_e32 v27, vcc_lo, s43, v29, vcc_lo
	v_add_co_u32 v28, vcc_lo, s74, v28
	v_add_co_ci_u32_e32 v29, vcc_lo, s75, v29, vcc_lo
	s_branch .LBB17_161
.LBB17_160:                             ;   in Loop: Header=BB17_161 Depth=3
	global_load_b64 v[35:36], v[28:29], off
	s_add_i32 s61, s61, 1
	v_add_co_u32 v26, vcc_lo, v26, 4
	v_add_co_ci_u32_e32 v27, vcc_lo, 0, v27, vcc_lo
	v_xor_b32_e32 v32, 0x80000000, v34
	s_waitcnt vmcnt(0)
	v_sub_f32_e32 v19, v35, v30
	v_add_co_u32 v35, vcc_lo, v28, 4
	s_delay_alu instid0(VALU_DEP_2) | instskip(SKIP_3) | instid1(VALU_DEP_4)
	v_sub_f32_e32 v30, v36, v19
	v_mul_f32_e32 v21, v21, v31
	v_add_f32_e32 v31, v33, v33
	v_add_co_ci_u32_e32 v36, vcc_lo, 0, v29, vcc_lo
	v_mul_f32_e32 v30, v34, v30
	v_add_co_u32 v42, vcc_lo, v24, s7
	v_add_co_ci_u32_e32 v43, vcc_lo, s78, v25, vcc_lo
	s_delay_alu instid0(VALU_DEP_3) | instskip(SKIP_1) | instid1(VALU_DEP_2)
	v_fma_f32 v31, v21, v31, -v30
	v_add_nc_u32_e32 v30, s61, v20
	v_fma_f32 v44, v31, -v34, v19
	s_delay_alu instid0(VALU_DEP_2)
	v_cmp_ge_i32_e32 vcc_lo, v30, v16
	v_mul_f32_e64 v30, v31, -v34
	v_fma_f32 v19, v33, v31, -v21
	v_mov_b32_e32 v21, v33
	global_store_b32 v[28:29], v44, off
	global_store_b32 v[24:25], v33, off
	v_add_co_u32 v24, s1, v24, 4
	s_delay_alu instid0(VALU_DEP_1)
	v_add_co_ci_u32_e64 v25, s1, 0, v25, s1
	v_dual_mov_b32 v28, v35 :: v_dual_mov_b32 v29, v36
	s_or_b32 s60, vcc_lo, s60
	global_store_b32 v[42:43], v32, off
	s_and_not1_b32 exec_lo, exec_lo, s60
	s_cbranch_execz .LBB17_173
.LBB17_161:                             ;   Parent Loop BB17_7 Depth=1
                                        ;     Parent Loop BB17_133 Depth=2
                                        ; =>    This Inner Loop Header: Depth=3
	global_load_b32 v31, v[26:27], off offset:4
	v_mov_b32_e32 v34, 0
	s_mov_b32 s62, exec_lo
	s_waitcnt vmcnt(0)
	v_dual_mov_b32 v33, 1.0 :: v_dual_mul_f32 v32, v32, v31
	s_delay_alu instid0(VALU_DEP_1)
	v_cmpx_neq_f32_e32 0, v32
	s_cbranch_execz .LBB17_171
; %bb.162:                              ;   in Loop: Header=BB17_161 Depth=3
                                        ; implicit-def: $vgpr34
                                        ; implicit-def: $vgpr33
	s_mov_b32 s1, exec_lo
	v_cmpx_neq_f32_e32 0, v19
	s_xor_b32 s63, exec_lo, s1
	s_cbranch_execz .LBB17_168
; %bb.163:                              ;   in Loop: Header=BB17_161 Depth=3
	s_mov_b32 s64, exec_lo
                                        ; implicit-def: $vgpr34
                                        ; implicit-def: $vgpr33
	v_cmpx_ngt_f32_e64 |v32|, |v19|
	s_xor_b32 s64, exec_lo, s64
	s_cbranch_execz .LBB17_165
; %bb.164:                              ;   in Loop: Header=BB17_161 Depth=3
	v_div_scale_f32 v33, null, v19, v19, -v32
	v_div_scale_f32 v36, vcc_lo, -v32, v19, -v32
	s_delay_alu instid0(VALU_DEP_2) | instskip(SKIP_2) | instid1(VALU_DEP_1)
	v_rcp_f32_e32 v34, v33
	s_waitcnt_depctr 0xfff
	v_fma_f32 v35, -v33, v34, 1.0
	v_fmac_f32_e32 v34, v35, v34
	s_delay_alu instid0(VALU_DEP_1) | instskip(NEXT) | instid1(VALU_DEP_1)
	v_mul_f32_e32 v35, v36, v34
	v_fma_f32 v42, -v33, v35, v36
	s_delay_alu instid0(VALU_DEP_1) | instskip(NEXT) | instid1(VALU_DEP_1)
	v_fmac_f32_e32 v35, v42, v34
	v_fma_f32 v33, -v33, v35, v36
	s_delay_alu instid0(VALU_DEP_1) | instskip(NEXT) | instid1(VALU_DEP_1)
	v_div_fmas_f32 v33, v33, v34, v35
	v_div_fixup_f32 v34, v33, v19, -v32
	s_delay_alu instid0(VALU_DEP_1) | instskip(NEXT) | instid1(VALU_DEP_1)
	v_fma_f32 v33, v34, v34, 1.0
	v_mul_f32_e32 v35, 0x4f800000, v33
	v_cmp_gt_f32_e32 vcc_lo, 0xf800000, v33
	s_delay_alu instid0(VALU_DEP_2) | instskip(NEXT) | instid1(VALU_DEP_1)
	v_cndmask_b32_e32 v33, v33, v35, vcc_lo
	v_sqrt_f32_e32 v35, v33
	s_waitcnt_depctr 0xfff
	v_add_nc_u32_e32 v36, -1, v35
	v_add_nc_u32_e32 v42, 1, v35
	s_delay_alu instid0(VALU_DEP_2) | instskip(NEXT) | instid1(VALU_DEP_2)
	v_fma_f32 v43, -v36, v35, v33
	v_fma_f32 v44, -v42, v35, v33
	s_delay_alu instid0(VALU_DEP_2) | instskip(NEXT) | instid1(VALU_DEP_1)
	v_cmp_ge_f32_e64 s1, 0, v43
	v_cndmask_b32_e64 v35, v35, v36, s1
	s_delay_alu instid0(VALU_DEP_3) | instskip(NEXT) | instid1(VALU_DEP_1)
	v_cmp_lt_f32_e64 s1, 0, v44
	v_cndmask_b32_e64 v35, v35, v42, s1
	s_delay_alu instid0(VALU_DEP_1) | instskip(NEXT) | instid1(VALU_DEP_1)
	v_mul_f32_e32 v36, 0x37800000, v35
	v_cndmask_b32_e32 v35, v35, v36, vcc_lo
	v_cmp_class_f32_e64 vcc_lo, v33, 0x260
	s_delay_alu instid0(VALU_DEP_2) | instskip(NEXT) | instid1(VALU_DEP_1)
	v_cndmask_b32_e32 v33, v35, v33, vcc_lo
	v_div_scale_f32 v35, null, v33, v33, 1.0
	s_delay_alu instid0(VALU_DEP_1) | instskip(SKIP_2) | instid1(VALU_DEP_1)
	v_rcp_f32_e32 v36, v35
	s_waitcnt_depctr 0xfff
	v_fma_f32 v42, -v35, v36, 1.0
	v_fmac_f32_e32 v36, v42, v36
	v_div_scale_f32 v42, vcc_lo, 1.0, v33, 1.0
	s_delay_alu instid0(VALU_DEP_1) | instskip(NEXT) | instid1(VALU_DEP_1)
	v_mul_f32_e32 v43, v42, v36
	v_fma_f32 v44, -v35, v43, v42
	s_delay_alu instid0(VALU_DEP_1) | instskip(NEXT) | instid1(VALU_DEP_1)
	v_fmac_f32_e32 v43, v44, v36
	v_fma_f32 v35, -v35, v43, v42
	s_delay_alu instid0(VALU_DEP_1) | instskip(NEXT) | instid1(VALU_DEP_1)
	v_div_fmas_f32 v35, v35, v36, v43
	v_div_fixup_f32 v33, v35, v33, 1.0
	s_delay_alu instid0(VALU_DEP_1)
	v_mul_f32_e32 v34, v34, v33
.LBB17_165:                             ;   in Loop: Header=BB17_161 Depth=3
	s_and_not1_saveexec_b32 s64, s64
	s_cbranch_execz .LBB17_167
; %bb.166:                              ;   in Loop: Header=BB17_161 Depth=3
	v_div_scale_f32 v33, null, v32, v32, -v19
	v_div_scale_f32 v36, vcc_lo, -v19, v32, -v19
	s_delay_alu instid0(VALU_DEP_2) | instskip(SKIP_2) | instid1(VALU_DEP_1)
	v_rcp_f32_e32 v34, v33
	s_waitcnt_depctr 0xfff
	v_fma_f32 v35, -v33, v34, 1.0
	v_fmac_f32_e32 v34, v35, v34
	s_delay_alu instid0(VALU_DEP_1) | instskip(NEXT) | instid1(VALU_DEP_1)
	v_mul_f32_e32 v35, v36, v34
	v_fma_f32 v42, -v33, v35, v36
	s_delay_alu instid0(VALU_DEP_1) | instskip(NEXT) | instid1(VALU_DEP_1)
	v_fmac_f32_e32 v35, v42, v34
	v_fma_f32 v33, -v33, v35, v36
	s_delay_alu instid0(VALU_DEP_1) | instskip(NEXT) | instid1(VALU_DEP_1)
	v_div_fmas_f32 v33, v33, v34, v35
	v_div_fixup_f32 v33, v33, v32, -v19
	s_delay_alu instid0(VALU_DEP_1) | instskip(NEXT) | instid1(VALU_DEP_1)
	v_fma_f32 v34, v33, v33, 1.0
	v_mul_f32_e32 v35, 0x4f800000, v34
	v_cmp_gt_f32_e32 vcc_lo, 0xf800000, v34
	s_delay_alu instid0(VALU_DEP_2) | instskip(NEXT) | instid1(VALU_DEP_1)
	v_cndmask_b32_e32 v34, v34, v35, vcc_lo
	v_sqrt_f32_e32 v35, v34
	s_waitcnt_depctr 0xfff
	v_add_nc_u32_e32 v36, -1, v35
	v_add_nc_u32_e32 v42, 1, v35
	s_delay_alu instid0(VALU_DEP_2) | instskip(NEXT) | instid1(VALU_DEP_2)
	v_fma_f32 v43, -v36, v35, v34
	v_fma_f32 v44, -v42, v35, v34
	s_delay_alu instid0(VALU_DEP_2) | instskip(NEXT) | instid1(VALU_DEP_1)
	v_cmp_ge_f32_e64 s1, 0, v43
	v_cndmask_b32_e64 v35, v35, v36, s1
	s_delay_alu instid0(VALU_DEP_3) | instskip(NEXT) | instid1(VALU_DEP_1)
	v_cmp_lt_f32_e64 s1, 0, v44
	v_cndmask_b32_e64 v35, v35, v42, s1
	s_delay_alu instid0(VALU_DEP_1) | instskip(NEXT) | instid1(VALU_DEP_1)
	v_mul_f32_e32 v36, 0x37800000, v35
	v_cndmask_b32_e32 v35, v35, v36, vcc_lo
	v_cmp_class_f32_e64 vcc_lo, v34, 0x260
	s_delay_alu instid0(VALU_DEP_2) | instskip(NEXT) | instid1(VALU_DEP_1)
	v_cndmask_b32_e32 v34, v35, v34, vcc_lo
	v_div_scale_f32 v35, null, v34, v34, 1.0
	s_delay_alu instid0(VALU_DEP_1) | instskip(SKIP_2) | instid1(VALU_DEP_1)
	v_rcp_f32_e32 v36, v35
	s_waitcnt_depctr 0xfff
	v_fma_f32 v42, -v35, v36, 1.0
	v_fmac_f32_e32 v36, v42, v36
	v_div_scale_f32 v42, vcc_lo, 1.0, v34, 1.0
	s_delay_alu instid0(VALU_DEP_1) | instskip(NEXT) | instid1(VALU_DEP_1)
	v_mul_f32_e32 v43, v42, v36
	v_fma_f32 v44, -v35, v43, v42
	s_delay_alu instid0(VALU_DEP_1) | instskip(NEXT) | instid1(VALU_DEP_1)
	v_fmac_f32_e32 v43, v44, v36
	v_fma_f32 v35, -v35, v43, v42
	s_delay_alu instid0(VALU_DEP_1) | instskip(NEXT) | instid1(VALU_DEP_1)
	v_div_fmas_f32 v35, v35, v36, v43
	v_div_fixup_f32 v34, v35, v34, 1.0
	s_delay_alu instid0(VALU_DEP_1)
	v_mul_f32_e32 v33, v33, v34
.LBB17_167:                             ;   in Loop: Header=BB17_161 Depth=3
	s_or_b32 exec_lo, exec_lo, s64
	s_delay_alu instid0(VALU_DEP_1) | instskip(NEXT) | instid1(VALU_DEP_1)
	v_mul_f32_e32 v32, v32, v34
	v_fma_f32 v19, v19, v33, -v32
                                        ; implicit-def: $vgpr32
.LBB17_168:                             ;   in Loop: Header=BB17_161 Depth=3
	s_and_not1_saveexec_b32 s1, s63
; %bb.169:                              ;   in Loop: Header=BB17_161 Depth=3
	v_xor_b32_e32 v19, 0x80000000, v32
	v_dual_mov_b32 v34, 1.0 :: v_dual_mov_b32 v33, 0
; %bb.170:                              ;   in Loop: Header=BB17_161 Depth=3
	s_or_b32 exec_lo, exec_lo, s1
.LBB17_171:                             ;   in Loop: Header=BB17_161 Depth=3
	s_delay_alu instid0(SALU_CYCLE_1)
	s_or_b32 exec_lo, exec_lo, s62
	s_cmp_eq_u32 s61, 0
	s_cbranch_scc1 .LBB17_160
; %bb.172:                              ;   in Loop: Header=BB17_161 Depth=3
	global_store_b32 v[26:27], v19, off
	s_branch .LBB17_160
.LBB17_173:                             ;   in Loop: Header=BB17_133 Depth=2
	s_or_b32 exec_lo, exec_lo, s60
	ds_store_b32 v0, v30 offset:8
.LBB17_174:                             ;   in Loop: Header=BB17_133 Depth=2
	s_or_b32 exec_lo, exec_lo, s59
	global_load_b32 v28, v[17:18], off
.LBB17_175:                             ;   in Loop: Header=BB17_133 Depth=2
	s_or_b32 exec_lo, exec_lo, s58
	s_waitcnt vmcnt(0)
	v_sub_f32_e32 v16, v28, v30
                                        ; implicit-def: $vgpr28
                                        ; implicit-def: $vgpr20
	global_store_b32 v[17:18], v16, off
	global_store_b32 v[22:23], v19, off
                                        ; implicit-def: $vgpr17_vgpr18
                                        ; implicit-def: $vgpr22_vgpr23
                                        ; implicit-def: $vgpr16
.LBB17_176:                             ;   in Loop: Header=BB17_133 Depth=2
	s_and_not1_saveexec_b32 s58, s3
	s_cbranch_execz .LBB17_209
; %bb.177:                              ;   in Loop: Header=BB17_133 Depth=2
	v_ashrrev_i32_e32 v21, 31, v20
	s_mov_b32 s3, exec_lo
	s_delay_alu instid0(VALU_DEP_1) | instskip(NEXT) | instid1(VALU_DEP_1)
	v_lshlrev_b64 v[19:20], 2, v[20:21]
	v_add_co_u32 v24, vcc_lo, s10, v19
	s_delay_alu instid0(VALU_DEP_2)
	v_add_co_ci_u32_e32 v25, vcc_lo, s33, v20, vcc_lo
	v_add_co_u32 v26, vcc_lo, s18, v19
	v_add_co_ci_u32_e32 v27, vcc_lo, s19, v20, vcc_lo
	global_load_b32 v29, v[24:25], off
	global_load_b32 v24, v[26:27], off
                                        ; implicit-def: $vgpr27
	s_waitcnt vmcnt(0)
	v_dual_add_f32 v21, v29, v29 :: v_dual_sub_f32 v26, v24, v28
	s_delay_alu instid0(VALU_DEP_1) | instskip(NEXT) | instid1(VALU_DEP_2)
	v_and_b32_e32 v25, 0x7fffffff, v21
	v_cmpx_ngt_f32_e64 |v26|, |v21|
	s_xor_b32 s3, exec_lo, s3
	s_cbranch_execz .LBB17_183
; %bb.178:                              ;   in Loop: Header=BB17_133 Depth=2
	v_cmp_nlt_f32_e64 s1, |v26|, |v21|
                                        ; implicit-def: $vgpr27
	s_delay_alu instid0(VALU_DEP_1) | instskip(NEXT) | instid1(SALU_CYCLE_1)
	s_and_saveexec_b32 s59, s1
	s_xor_b32 s1, exec_lo, s59
; %bb.179:                              ;   in Loop: Header=BB17_133 Depth=2
	v_cvt_f64_f32_e32 v[30:31], v25
                                        ; implicit-def: $vgpr25
	s_delay_alu instid0(VALU_DEP_1) | instskip(NEXT) | instid1(VALU_DEP_1)
	v_mul_f64 v[30:31], v[30:31], s[56:57]
	v_cvt_f32_f64_e32 v27, v[30:31]
; %bb.180:                              ;   in Loop: Header=BB17_133 Depth=2
	s_and_not1_saveexec_b32 s59, s1
	s_cbranch_execz .LBB17_182
; %bb.181:                              ;   in Loop: Header=BB17_133 Depth=2
	v_and_b32_e32 v27, 0x7fffffff, v26
	s_delay_alu instid0(VALU_DEP_1) | instskip(SKIP_1) | instid1(VALU_DEP_2)
	v_div_scale_f32 v30, null, v25, v25, v27
	v_div_scale_f32 v25, vcc_lo, v27, v25, v27
	v_rcp_f32_e32 v31, v30
	s_waitcnt_depctr 0xfff
	v_fma_f32 v32, -v30, v31, 1.0
	s_delay_alu instid0(VALU_DEP_1) | instskip(NEXT) | instid1(VALU_DEP_1)
	v_fmac_f32_e32 v31, v32, v31
	v_mul_f32_e32 v27, v25, v31
	s_delay_alu instid0(VALU_DEP_1) | instskip(NEXT) | instid1(VALU_DEP_1)
	v_fma_f32 v32, -v30, v27, v25
	v_fmac_f32_e32 v27, v32, v31
	s_delay_alu instid0(VALU_DEP_1) | instskip(NEXT) | instid1(VALU_DEP_1)
	v_fma_f32 v25, -v30, v27, v25
	v_div_fmas_f32 v25, v25, v31, v27
	s_delay_alu instid0(VALU_DEP_1) | instskip(NEXT) | instid1(VALU_DEP_1)
	v_div_fixup_f32 v25, v25, |v21|, |v26|
	v_fma_f32 v25, v25, v25, 1.0
	s_delay_alu instid0(VALU_DEP_1) | instskip(SKIP_1) | instid1(VALU_DEP_2)
	v_mul_f32_e32 v27, 0x4f800000, v25
	v_cmp_gt_f32_e32 vcc_lo, 0xf800000, v25
	v_cndmask_b32_e32 v25, v25, v27, vcc_lo
	s_delay_alu instid0(VALU_DEP_1) | instskip(SKIP_3) | instid1(VALU_DEP_2)
	v_sqrt_f32_e32 v27, v25
	s_waitcnt_depctr 0xfff
	v_add_nc_u32_e32 v30, -1, v27
	v_add_nc_u32_e32 v31, 1, v27
	v_fma_f32 v32, -v30, v27, v25
	s_delay_alu instid0(VALU_DEP_2) | instskip(NEXT) | instid1(VALU_DEP_2)
	v_fma_f32 v33, -v31, v27, v25
	v_cmp_ge_f32_e64 s1, 0, v32
	s_delay_alu instid0(VALU_DEP_1) | instskip(NEXT) | instid1(VALU_DEP_3)
	v_cndmask_b32_e64 v27, v27, v30, s1
	v_cmp_lt_f32_e64 s1, 0, v33
	s_delay_alu instid0(VALU_DEP_1) | instskip(NEXT) | instid1(VALU_DEP_1)
	v_cndmask_b32_e64 v27, v27, v31, s1
	v_mul_f32_e32 v30, 0x37800000, v27
	s_delay_alu instid0(VALU_DEP_1) | instskip(SKIP_1) | instid1(VALU_DEP_2)
	v_cndmask_b32_e32 v27, v27, v30, vcc_lo
	v_cmp_class_f32_e64 vcc_lo, v25, 0x260
	v_cndmask_b32_e32 v25, v27, v25, vcc_lo
	s_delay_alu instid0(VALU_DEP_1)
	v_mul_f32_e64 v27, |v21|, v25
.LBB17_182:                             ;   in Loop: Header=BB17_133 Depth=2
	s_or_b32 exec_lo, exec_lo, s59
                                        ; implicit-def: $vgpr25
.LBB17_183:                             ;   in Loop: Header=BB17_133 Depth=2
	s_and_not1_saveexec_b32 s3, s3
	s_cbranch_execz .LBB17_185
; %bb.184:                              ;   in Loop: Header=BB17_133 Depth=2
	v_and_b32_e32 v27, 0x7fffffff, v26
	s_delay_alu instid0(VALU_DEP_1) | instskip(SKIP_1) | instid1(VALU_DEP_2)
	v_div_scale_f32 v30, null, v27, v27, v25
	v_div_scale_f32 v25, vcc_lo, v25, v27, v25
	v_rcp_f32_e32 v31, v30
	s_waitcnt_depctr 0xfff
	v_fma_f32 v32, -v30, v31, 1.0
	s_delay_alu instid0(VALU_DEP_1) | instskip(NEXT) | instid1(VALU_DEP_1)
	v_fmac_f32_e32 v31, v32, v31
	v_mul_f32_e32 v27, v25, v31
	s_delay_alu instid0(VALU_DEP_1) | instskip(NEXT) | instid1(VALU_DEP_1)
	v_fma_f32 v32, -v30, v27, v25
	v_fmac_f32_e32 v27, v32, v31
	s_delay_alu instid0(VALU_DEP_1) | instskip(NEXT) | instid1(VALU_DEP_1)
	v_fma_f32 v25, -v30, v27, v25
	v_div_fmas_f32 v25, v25, v31, v27
	s_delay_alu instid0(VALU_DEP_1) | instskip(NEXT) | instid1(VALU_DEP_1)
	v_div_fixup_f32 v25, v25, |v26|, |v21|
	v_fma_f32 v25, v25, v25, 1.0
	s_delay_alu instid0(VALU_DEP_1) | instskip(SKIP_1) | instid1(VALU_DEP_2)
	v_mul_f32_e32 v27, 0x4f800000, v25
	v_cmp_gt_f32_e32 vcc_lo, 0xf800000, v25
	v_cndmask_b32_e32 v25, v25, v27, vcc_lo
	s_delay_alu instid0(VALU_DEP_1) | instskip(SKIP_3) | instid1(VALU_DEP_2)
	v_sqrt_f32_e32 v27, v25
	s_waitcnt_depctr 0xfff
	v_add_nc_u32_e32 v30, -1, v27
	v_add_nc_u32_e32 v31, 1, v27
	v_fma_f32 v32, -v30, v27, v25
	s_delay_alu instid0(VALU_DEP_2) | instskip(NEXT) | instid1(VALU_DEP_2)
	v_fma_f32 v33, -v31, v27, v25
	v_cmp_ge_f32_e64 s1, 0, v32
	s_delay_alu instid0(VALU_DEP_1) | instskip(NEXT) | instid1(VALU_DEP_3)
	v_cndmask_b32_e64 v27, v27, v30, s1
	v_cmp_lt_f32_e64 s1, 0, v33
	s_delay_alu instid0(VALU_DEP_1) | instskip(NEXT) | instid1(VALU_DEP_1)
	v_cndmask_b32_e64 v27, v27, v31, s1
	v_mul_f32_e32 v30, 0x37800000, v27
	s_delay_alu instid0(VALU_DEP_1) | instskip(SKIP_1) | instid1(VALU_DEP_2)
	v_cndmask_b32_e32 v27, v27, v30, vcc_lo
	v_cmp_class_f32_e64 vcc_lo, v25, 0x260
	v_cndmask_b32_e32 v25, v27, v25, vcc_lo
	s_delay_alu instid0(VALU_DEP_1)
	v_mul_f32_e64 v27, |v26|, v25
.LBB17_185:                             ;   in Loop: Header=BB17_133 Depth=2
	s_or_b32 exec_lo, exec_lo, s3
	v_cmp_gt_f32_e64 vcc_lo, |v24|, |v28|
	v_add_f32_e32 v31, v28, v24
                                        ; implicit-def: $vgpr25
	s_mov_b32 s1, exec_lo
	v_cndmask_b32_e32 v30, v24, v28, vcc_lo
	v_cndmask_b32_e32 v32, v28, v24, vcc_lo
                                        ; implicit-def: $vgpr28
	s_delay_alu instid0(VALU_DEP_3)
	v_cmpx_ngt_f32_e32 0, v31
	s_xor_b32 s3, exec_lo, s1
	s_cbranch_execz .LBB17_191
; %bb.186:                              ;   in Loop: Header=BB17_133 Depth=2
	s_mov_b32 s59, exec_lo
                                        ; implicit-def: $sgpr1
                                        ; implicit-def: $vgpr25
	v_cmpx_nlt_f32_e32 0, v31
	s_xor_b32 s59, exec_lo, s59
; %bb.187:                              ;   in Loop: Header=BB17_133 Depth=2
	v_mul_f32_e32 v24, 0.5, v27
	v_mul_f32_e32 v25, -0.5, v27
	s_mov_b32 s1, 1
                                        ; implicit-def: $vgpr31
                                        ; implicit-def: $vgpr32
                                        ; implicit-def: $vgpr30
                                        ; implicit-def: $vgpr29
; %bb.188:                              ;   in Loop: Header=BB17_133 Depth=2
	s_or_saveexec_b32 s59, s59
	v_mov_b32_e32 v28, s1
	s_xor_b32 exec_lo, exec_lo, s59
	s_cbranch_execz .LBB17_190
; %bb.189:                              ;   in Loop: Header=BB17_133 Depth=2
	v_add_f32_e32 v24, v31, v27
	v_cvt_f64_f32_e32 v[31:32], v32
	v_cvt_f64_f32_e32 v[28:29], v29
	s_delay_alu instid0(VALU_DEP_3) | instskip(NEXT) | instid1(VALU_DEP_1)
	v_mul_f32_e32 v24, 0.5, v24
	v_cvt_f64_f32_e32 v[33:34], v24
	s_delay_alu instid0(VALU_DEP_1) | instskip(NEXT) | instid1(VALU_DEP_4)
	v_div_scale_f64 v[35:36], null, v[33:34], v[33:34], v[31:32]
	v_div_scale_f64 v[42:43], null, v[33:34], v[33:34], v[28:29]
	v_div_scale_f64 v[52:53], vcc_lo, v[31:32], v[33:34], v[31:32]
	s_delay_alu instid0(VALU_DEP_3) | instskip(NEXT) | instid1(VALU_DEP_2)
	v_rcp_f64_e32 v[44:45], v[35:36]
	v_rcp_f64_e32 v[46:47], v[42:43]
	s_waitcnt_depctr 0xfff
	v_fma_f64 v[48:49], -v[35:36], v[44:45], 1.0
	v_fma_f64 v[50:51], -v[42:43], v[46:47], 1.0
	s_delay_alu instid0(VALU_DEP_2) | instskip(NEXT) | instid1(VALU_DEP_2)
	v_fma_f64 v[44:45], v[44:45], v[48:49], v[44:45]
	v_fma_f64 v[46:47], v[46:47], v[50:51], v[46:47]
	s_delay_alu instid0(VALU_DEP_2) | instskip(NEXT) | instid1(VALU_DEP_2)
	v_fma_f64 v[48:49], -v[35:36], v[44:45], 1.0
	v_fma_f64 v[50:51], -v[42:43], v[46:47], 1.0
	s_delay_alu instid0(VALU_DEP_2) | instskip(SKIP_1) | instid1(VALU_DEP_3)
	v_fma_f64 v[44:45], v[44:45], v[48:49], v[44:45]
	v_div_scale_f64 v[48:49], s1, v[28:29], v[33:34], v[28:29]
	v_fma_f64 v[46:47], v[46:47], v[50:51], v[46:47]
	s_delay_alu instid0(VALU_DEP_3) | instskip(NEXT) | instid1(VALU_DEP_2)
	v_mul_f64 v[50:51], v[52:53], v[44:45]
	v_mul_f64 v[54:55], v[48:49], v[46:47]
	s_delay_alu instid0(VALU_DEP_2) | instskip(NEXT) | instid1(VALU_DEP_2)
	v_fma_f64 v[35:36], -v[35:36], v[50:51], v[52:53]
	v_fma_f64 v[42:43], -v[42:43], v[54:55], v[48:49]
	s_delay_alu instid0(VALU_DEP_2) | instskip(SKIP_1) | instid1(VALU_DEP_2)
	v_div_fmas_f64 v[35:36], v[35:36], v[44:45], v[50:51]
	s_mov_b32 vcc_lo, s1
	v_div_fmas_f64 v[42:43], v[42:43], v[46:47], v[54:55]
	s_delay_alu instid0(VALU_DEP_2) | instskip(NEXT) | instid1(VALU_DEP_2)
	v_div_fixup_f64 v[31:32], v[35:36], v[33:34], v[31:32]
	v_div_fixup_f64 v[42:43], v[42:43], v[33:34], v[28:29]
	v_cvt_f64_f32_e32 v[33:34], v30
	s_delay_alu instid0(VALU_DEP_2) | instskip(NEXT) | instid1(VALU_DEP_1)
	v_mul_f64 v[28:29], v[42:43], v[28:29]
	v_fma_f64 v[28:29], v[31:32], v[33:34], -v[28:29]
	s_delay_alu instid0(VALU_DEP_1)
	v_cvt_f32_f64_e32 v25, v[28:29]
	v_mov_b32_e32 v28, 1
.LBB17_190:                             ;   in Loop: Header=BB17_133 Depth=2
	s_or_b32 exec_lo, exec_lo, s59
                                        ; implicit-def: $vgpr31
                                        ; implicit-def: $vgpr32
                                        ; implicit-def: $vgpr30
                                        ; implicit-def: $vgpr29
.LBB17_191:                             ;   in Loop: Header=BB17_133 Depth=2
	s_and_not1_saveexec_b32 s3, s3
	s_cbranch_execz .LBB17_193
; %bb.192:                              ;   in Loop: Header=BB17_133 Depth=2
	v_sub_f32_e32 v24, v31, v27
	v_cvt_f64_f32_e32 v[31:32], v32
	v_cvt_f64_f32_e32 v[28:29], v29
	s_delay_alu instid0(VALU_DEP_3) | instskip(NEXT) | instid1(VALU_DEP_1)
	v_mul_f32_e32 v24, 0.5, v24
	v_cvt_f64_f32_e32 v[33:34], v24
	s_delay_alu instid0(VALU_DEP_1) | instskip(NEXT) | instid1(VALU_DEP_4)
	v_div_scale_f64 v[35:36], null, v[33:34], v[33:34], v[31:32]
	v_div_scale_f64 v[42:43], null, v[33:34], v[33:34], v[28:29]
	v_div_scale_f64 v[52:53], vcc_lo, v[31:32], v[33:34], v[31:32]
	s_delay_alu instid0(VALU_DEP_3) | instskip(NEXT) | instid1(VALU_DEP_2)
	v_rcp_f64_e32 v[44:45], v[35:36]
	v_rcp_f64_e32 v[46:47], v[42:43]
	s_waitcnt_depctr 0xfff
	v_fma_f64 v[48:49], -v[35:36], v[44:45], 1.0
	v_fma_f64 v[50:51], -v[42:43], v[46:47], 1.0
	s_delay_alu instid0(VALU_DEP_2) | instskip(NEXT) | instid1(VALU_DEP_2)
	v_fma_f64 v[44:45], v[44:45], v[48:49], v[44:45]
	v_fma_f64 v[46:47], v[46:47], v[50:51], v[46:47]
	s_delay_alu instid0(VALU_DEP_2) | instskip(NEXT) | instid1(VALU_DEP_2)
	v_fma_f64 v[48:49], -v[35:36], v[44:45], 1.0
	v_fma_f64 v[50:51], -v[42:43], v[46:47], 1.0
	s_delay_alu instid0(VALU_DEP_2) | instskip(SKIP_1) | instid1(VALU_DEP_3)
	v_fma_f64 v[44:45], v[44:45], v[48:49], v[44:45]
	v_div_scale_f64 v[48:49], s1, v[28:29], v[33:34], v[28:29]
	v_fma_f64 v[46:47], v[46:47], v[50:51], v[46:47]
	s_delay_alu instid0(VALU_DEP_3) | instskip(NEXT) | instid1(VALU_DEP_2)
	v_mul_f64 v[50:51], v[52:53], v[44:45]
	v_mul_f64 v[54:55], v[48:49], v[46:47]
	s_delay_alu instid0(VALU_DEP_2) | instskip(NEXT) | instid1(VALU_DEP_2)
	v_fma_f64 v[35:36], -v[35:36], v[50:51], v[52:53]
	v_fma_f64 v[42:43], -v[42:43], v[54:55], v[48:49]
	s_delay_alu instid0(VALU_DEP_2) | instskip(SKIP_1) | instid1(VALU_DEP_2)
	v_div_fmas_f64 v[35:36], v[35:36], v[44:45], v[50:51]
	s_mov_b32 vcc_lo, s1
	v_div_fmas_f64 v[42:43], v[42:43], v[46:47], v[54:55]
	s_delay_alu instid0(VALU_DEP_2) | instskip(NEXT) | instid1(VALU_DEP_2)
	v_div_fixup_f64 v[31:32], v[35:36], v[33:34], v[31:32]
	v_div_fixup_f64 v[42:43], v[42:43], v[33:34], v[28:29]
	v_cvt_f64_f32_e32 v[33:34], v30
	s_delay_alu instid0(VALU_DEP_2) | instskip(NEXT) | instid1(VALU_DEP_1)
	v_mul_f64 v[28:29], v[42:43], v[28:29]
	v_fma_f64 v[28:29], v[31:32], v[33:34], -v[28:29]
	s_delay_alu instid0(VALU_DEP_1)
	v_cvt_f32_f64_e32 v25, v[28:29]
	v_mov_b32_e32 v28, -1
.LBB17_193:                             ;   in Loop: Header=BB17_133 Depth=2
	s_or_b32 exec_lo, exec_lo, s3
	v_cmp_nle_f32_e64 s1, 0, v26
	s_mov_b32 s59, exec_lo
                                        ; implicit-def: $vgpr29
	s_delay_alu instid0(VALU_DEP_1) | instskip(NEXT) | instid1(VALU_DEP_1)
	v_cndmask_b32_e64 v27, v27, -v27, s1
	v_add_f32_e32 v26, v26, v27
                                        ; implicit-def: $vgpr27
	s_delay_alu instid0(VALU_DEP_1)
	v_cmpx_ngt_f32_e64 |v26|, |v21|
	s_xor_b32 s59, exec_lo, s59
	s_cbranch_execz .LBB17_197
; %bb.194:                              ;   in Loop: Header=BB17_133 Depth=2
	v_mov_b32_e32 v27, 0
	v_mov_b32_e32 v29, 1.0
	s_mov_b32 s60, exec_lo
	v_cmpx_neq_f32_e32 0, v21
	s_cbranch_execz .LBB17_196
; %bb.195:                              ;   in Loop: Header=BB17_133 Depth=2
	v_div_scale_f32 v27, null, v21, v21, -v26
	v_div_scale_f32 v31, vcc_lo, -v26, v21, -v26
	s_delay_alu instid0(VALU_DEP_2) | instskip(SKIP_2) | instid1(VALU_DEP_1)
	v_rcp_f32_e32 v29, v27
	s_waitcnt_depctr 0xfff
	v_fma_f32 v30, -v27, v29, 1.0
	v_fmac_f32_e32 v29, v30, v29
	s_delay_alu instid0(VALU_DEP_1) | instskip(NEXT) | instid1(VALU_DEP_1)
	v_mul_f32_e32 v30, v31, v29
	v_fma_f32 v32, -v27, v30, v31
	s_delay_alu instid0(VALU_DEP_1) | instskip(NEXT) | instid1(VALU_DEP_1)
	v_fmac_f32_e32 v30, v32, v29
	v_fma_f32 v27, -v27, v30, v31
	s_delay_alu instid0(VALU_DEP_1) | instskip(NEXT) | instid1(VALU_DEP_1)
	v_div_fmas_f32 v27, v27, v29, v30
	v_div_fixup_f32 v21, v27, v21, -v26
	s_delay_alu instid0(VALU_DEP_1) | instskip(NEXT) | instid1(VALU_DEP_1)
	v_fma_f32 v26, v21, v21, 1.0
	v_mul_f32_e32 v27, 0x4f800000, v26
	v_cmp_gt_f32_e32 vcc_lo, 0xf800000, v26
	s_delay_alu instid0(VALU_DEP_2) | instskip(NEXT) | instid1(VALU_DEP_1)
	v_cndmask_b32_e32 v26, v26, v27, vcc_lo
	v_sqrt_f32_e32 v27, v26
	s_waitcnt_depctr 0xfff
	v_add_nc_u32_e32 v29, -1, v27
	v_add_nc_u32_e32 v30, 1, v27
	s_delay_alu instid0(VALU_DEP_2) | instskip(NEXT) | instid1(VALU_DEP_2)
	v_fma_f32 v31, -v29, v27, v26
	v_fma_f32 v32, -v30, v27, v26
	s_delay_alu instid0(VALU_DEP_2) | instskip(NEXT) | instid1(VALU_DEP_1)
	v_cmp_ge_f32_e64 s3, 0, v31
	v_cndmask_b32_e64 v27, v27, v29, s3
	s_delay_alu instid0(VALU_DEP_3) | instskip(NEXT) | instid1(VALU_DEP_1)
	v_cmp_lt_f32_e64 s3, 0, v32
	v_cndmask_b32_e64 v27, v27, v30, s3
	s_delay_alu instid0(VALU_DEP_1) | instskip(NEXT) | instid1(VALU_DEP_1)
	v_mul_f32_e32 v29, 0x37800000, v27
	v_cndmask_b32_e32 v27, v27, v29, vcc_lo
	v_cmp_class_f32_e64 vcc_lo, v26, 0x260
	s_delay_alu instid0(VALU_DEP_2) | instskip(NEXT) | instid1(VALU_DEP_1)
	v_cndmask_b32_e32 v26, v27, v26, vcc_lo
	v_div_scale_f32 v27, null, v26, v26, 1.0
	s_delay_alu instid0(VALU_DEP_1) | instskip(SKIP_2) | instid1(VALU_DEP_1)
	v_rcp_f32_e32 v29, v27
	s_waitcnt_depctr 0xfff
	v_fma_f32 v30, -v27, v29, 1.0
	v_fmac_f32_e32 v29, v30, v29
	v_div_scale_f32 v30, vcc_lo, 1.0, v26, 1.0
	s_delay_alu instid0(VALU_DEP_1) | instskip(NEXT) | instid1(VALU_DEP_1)
	v_mul_f32_e32 v31, v30, v29
	v_fma_f32 v32, -v27, v31, v30
	s_delay_alu instid0(VALU_DEP_1) | instskip(NEXT) | instid1(VALU_DEP_1)
	v_fmac_f32_e32 v31, v32, v29
	v_fma_f32 v27, -v27, v31, v30
	s_delay_alu instid0(VALU_DEP_1) | instskip(NEXT) | instid1(VALU_DEP_1)
	v_div_fmas_f32 v27, v27, v29, v31
	v_div_fixup_f32 v29, v27, v26, 1.0
	s_delay_alu instid0(VALU_DEP_1)
	v_mul_f32_e32 v27, v21, v29
.LBB17_196:                             ;   in Loop: Header=BB17_133 Depth=2
	s_or_b32 exec_lo, exec_lo, s60
                                        ; implicit-def: $vgpr26
                                        ; implicit-def: $vgpr21
.LBB17_197:                             ;   in Loop: Header=BB17_133 Depth=2
	s_and_not1_saveexec_b32 s59, s59
	s_cbranch_execz .LBB17_199
; %bb.198:                              ;   in Loop: Header=BB17_133 Depth=2
	v_div_scale_f32 v27, null, v26, v26, -v21
	v_div_scale_f32 v31, vcc_lo, -v21, v26, -v21
	s_delay_alu instid0(VALU_DEP_2) | instskip(SKIP_2) | instid1(VALU_DEP_1)
	v_rcp_f32_e32 v29, v27
	s_waitcnt_depctr 0xfff
	v_fma_f32 v30, -v27, v29, 1.0
	v_fmac_f32_e32 v29, v30, v29
	s_delay_alu instid0(VALU_DEP_1) | instskip(NEXT) | instid1(VALU_DEP_1)
	v_mul_f32_e32 v30, v31, v29
	v_fma_f32 v32, -v27, v30, v31
	s_delay_alu instid0(VALU_DEP_1) | instskip(NEXT) | instid1(VALU_DEP_1)
	v_fmac_f32_e32 v30, v32, v29
	v_fma_f32 v27, -v27, v30, v31
	s_delay_alu instid0(VALU_DEP_1) | instskip(NEXT) | instid1(VALU_DEP_1)
	v_div_fmas_f32 v27, v27, v29, v30
	v_div_fixup_f32 v21, v27, v26, -v21
	s_delay_alu instid0(VALU_DEP_1) | instskip(NEXT) | instid1(VALU_DEP_1)
	v_fma_f32 v26, v21, v21, 1.0
	v_mul_f32_e32 v27, 0x4f800000, v26
	v_cmp_gt_f32_e32 vcc_lo, 0xf800000, v26
	s_delay_alu instid0(VALU_DEP_2) | instskip(NEXT) | instid1(VALU_DEP_1)
	v_cndmask_b32_e32 v26, v26, v27, vcc_lo
	v_sqrt_f32_e32 v27, v26
	s_waitcnt_depctr 0xfff
	v_add_nc_u32_e32 v29, -1, v27
	v_add_nc_u32_e32 v30, 1, v27
	s_delay_alu instid0(VALU_DEP_2) | instskip(NEXT) | instid1(VALU_DEP_2)
	v_fma_f32 v31, -v29, v27, v26
	v_fma_f32 v32, -v30, v27, v26
	s_delay_alu instid0(VALU_DEP_2) | instskip(NEXT) | instid1(VALU_DEP_1)
	v_cmp_ge_f32_e64 s3, 0, v31
	v_cndmask_b32_e64 v27, v27, v29, s3
	s_delay_alu instid0(VALU_DEP_3) | instskip(NEXT) | instid1(VALU_DEP_1)
	v_cmp_lt_f32_e64 s3, 0, v32
	v_cndmask_b32_e64 v27, v27, v30, s3
	s_delay_alu instid0(VALU_DEP_1) | instskip(NEXT) | instid1(VALU_DEP_1)
	v_mul_f32_e32 v29, 0x37800000, v27
	v_cndmask_b32_e32 v27, v27, v29, vcc_lo
	v_cmp_class_f32_e64 vcc_lo, v26, 0x260
	s_delay_alu instid0(VALU_DEP_2) | instskip(NEXT) | instid1(VALU_DEP_1)
	v_cndmask_b32_e32 v26, v27, v26, vcc_lo
	v_div_scale_f32 v27, null, v26, v26, 1.0
	s_delay_alu instid0(VALU_DEP_1) | instskip(SKIP_2) | instid1(VALU_DEP_1)
	v_rcp_f32_e32 v29, v27
	s_waitcnt_depctr 0xfff
	v_fma_f32 v30, -v27, v29, 1.0
	v_fmac_f32_e32 v29, v30, v29
	v_div_scale_f32 v30, vcc_lo, 1.0, v26, 1.0
	s_delay_alu instid0(VALU_DEP_1) | instskip(NEXT) | instid1(VALU_DEP_1)
	v_mul_f32_e32 v31, v30, v29
	v_fma_f32 v32, -v27, v31, v30
	s_delay_alu instid0(VALU_DEP_1) | instskip(NEXT) | instid1(VALU_DEP_1)
	v_fmac_f32_e32 v31, v32, v29
	v_fma_f32 v27, -v27, v31, v30
	s_delay_alu instid0(VALU_DEP_1) | instskip(NEXT) | instid1(VALU_DEP_1)
	v_div_fmas_f32 v27, v27, v29, v31
	v_div_fixup_f32 v27, v27, v26, 1.0
	s_delay_alu instid0(VALU_DEP_1)
	v_mul_f32_e32 v29, v21, v27
.LBB17_199:                             ;   in Loop: Header=BB17_133 Depth=2
	s_or_b32 exec_lo, exec_lo, s59
	v_cndmask_b32_e64 v21, 1, -1, s1
	v_add_co_u32 v19, s1, s72, v19
	s_delay_alu instid0(VALU_DEP_1) | instskip(NEXT) | instid1(VALU_DEP_3)
	v_add_co_ci_u32_e64 v20, s1, s73, v20, s1
	v_cmp_eq_u32_e32 vcc_lo, v28, v21
	v_add_nc_u32_e32 v16, -2, v16
	v_cndmask_b32_e64 v28, v29, -v27, vcc_lo
	v_cndmask_b32_e32 v29, v27, v29, vcc_lo
	v_add_co_u32 v26, vcc_lo, v19, s46
	v_add_co_ci_u32_e32 v27, vcc_lo, s47, v20, vcc_lo
	v_add_co_u32 v21, vcc_lo, s42, v22
	v_add_co_ci_u32_e32 v22, vcc_lo, s43, v23, vcc_lo
	s_clause 0x1
	global_store_b32 v[19:20], v28, off
	global_store_b32 v[26:27], v29, off offset:-4
	global_store_b64 v[17:18], v[24:25], off offset:-4
	global_store_b32 v[21:22], v0, off
	ds_store_b32 v0, v16
	s_or_b32 exec_lo, exec_lo, s58
                                        ; implicit-def: $vgpr21
.LBB17_200:                             ;   in Loop: Header=BB17_133 Depth=2
	s_and_not1_saveexec_b32 s1, s37
	s_cbranch_execz .LBB17_202
.LBB17_201:                             ;   in Loop: Header=BB17_133 Depth=2
	ds_store_b32 v0, v21
.LBB17_202:                             ;   in Loop: Header=BB17_133 Depth=2
	s_or_b32 exec_lo, exec_lo, s1
.LBB17_203:                             ;   in Loop: Header=BB17_133 Depth=2
	s_delay_alu instid0(SALU_CYCLE_1)
	s_or_b32 exec_lo, exec_lo, s4
	s_waitcnt lgkmcnt(0)
	s_waitcnt_vscnt null, 0x0
	s_barrier
	buffer_gl0_inv
	ds_load_b64 v[16:17], v0
	s_waitcnt lgkmcnt(0)
	v_readfirstlane_b32 s58, v17
	s_delay_alu instid0(VALU_DEP_1)
	v_cmp_eq_u32_e32 vcc_lo, s58, v16
	v_mov_b32_e32 v16, s58
	s_cbranch_vccnz .LBB17_132
; %bb.204:                              ;   in Loop: Header=BB17_133 Depth=2
	s_and_saveexec_b32 s3, s0
	s_cbranch_execz .LBB17_131
; %bb.205:                              ;   in Loop: Header=BB17_133 Depth=2
	ds_load_b32 v16, v0 offset:16
	s_ashr_i32 s59, s58, 31
	s_mul_i32 s60, s58, s11
	s_lshl_b64 s[62:63], s[58:59], 2
	v_mov_b32_e32 v18, v1
	s_waitcnt lgkmcnt(0)
	v_readfirstlane_b32 s1, v16
	s_delay_alu instid0(VALU_DEP_1)
	s_sub_i32 s4, s1, s58
	s_add_u32 s58, s72, s62
	s_addc_u32 s59, s73, s63
	s_ashr_i32 s61, s60, 31
	s_mul_hi_i32 s65, s4, s40
	s_lshl_b64 s[60:61], s[60:61], 3
	s_mul_i32 s64, s4, s40
	s_add_u32 s37, s70, s60
	s_addc_u32 s62, s71, s61
	s_cmp_gt_i32 s4, 0
	v_add_co_u32 v16, vcc_lo, v38, s60
	v_add_co_ci_u32_e32 v17, vcc_lo, s61, v39, vcc_lo
	s_cselect_b32 s63, -1, 0
	s_lshl_b64 s[60:61], s[64:65], 3
	s_mov_b32 s64, 0
	s_add_u32 s65, s37, s60
	s_addc_u32 s66, s62, s61
	s_branch .LBB17_207
.LBB17_206:                             ;   in Loop: Header=BB17_207 Depth=3
	v_add_nc_u32_e32 v18, s30, v18
	v_add_co_u32 v19, vcc_lo, s65, v19
	v_add_co_ci_u32_e32 v20, vcc_lo, s66, v20, vcc_lo
	s_delay_alu instid0(VALU_DEP_3) | instskip(SKIP_1) | instid1(VALU_DEP_1)
	v_cmp_le_i32_e32 vcc_lo, s6, v18
	v_add_co_u32 v16, s1, v16, s54
	v_add_co_ci_u32_e64 v17, s1, s55, v17, s1
	s_or_b32 s64, vcc_lo, s64
	s_waitcnt vmcnt(0)
	global_store_b64 v[19:20], v[21:22], off
	s_and_not1_b32 exec_lo, exec_lo, s64
	s_cbranch_execz .LBB17_131
.LBB17_207:                             ;   Parent Loop BB17_7 Depth=1
                                        ;     Parent Loop BB17_133 Depth=2
                                        ; =>    This Loop Header: Depth=3
                                        ;         Child Loop BB17_208 Depth 4
	v_ashrrev_i32_e32 v19, 31, v18
	v_dual_mov_b32 v24, v17 :: v_dual_mov_b32 v23, v16
	s_mov_b64 s[60:61], s[58:59]
	s_mov_b32 s1, s4
	s_delay_alu instid0(VALU_DEP_2) | instskip(NEXT) | instid1(VALU_DEP_1)
	v_lshlrev_b64 v[19:20], 3, v[18:19]
	v_add_co_u32 v21, vcc_lo, s37, v19
	s_delay_alu instid0(VALU_DEP_2)
	v_add_co_ci_u32_e32 v22, vcc_lo, s62, v20, vcc_lo
	s_and_not1_b32 vcc_lo, exec_lo, s63
	global_load_b64 v[21:22], v[21:22], off
	s_cbranch_vccnz .LBB17_206
	.p2align	6
.LBB17_208:                             ;   Parent Loop BB17_7 Depth=1
                                        ;     Parent Loop BB17_133 Depth=2
                                        ;       Parent Loop BB17_207 Depth=3
                                        ; =>      This Inner Loop Header: Depth=4
	s_delay_alu instid0(VALU_DEP_1) | instskip(NEXT) | instid1(VALU_DEP_2)
	v_add_co_u32 v25, vcc_lo, v23, s52
	v_add_co_ci_u32_e32 v26, vcc_lo, s53, v24, vcc_lo
	s_add_u32 s68, s60, s7
	s_addc_u32 s69, s61, s78
	global_load_b32 v31, v0, s[68:69]
	global_load_b64 v[27:28], v[25:26], off offset:-4
	global_load_b32 v32, v0, s[60:61]
	s_add_i32 s1, s1, -1
	s_add_u32 s60, s60, 4
	s_addc_u32 s61, s61, 0
	s_cmp_eq_u32 s1, 0
	s_waitcnt vmcnt(1)
	v_dual_mul_f32 v33, v21, v31 :: v_dual_mul_f32 v30, v31, v28
	v_mul_f32_e32 v29, v31, v27
	v_mul_f32_e32 v31, v22, v31
	s_waitcnt vmcnt(0)
	s_delay_alu instid0(VALU_DEP_3) | instskip(NEXT) | instid1(VALU_DEP_3)
	v_fmac_f32_e32 v30, v22, v32
	v_fmac_f32_e32 v29, v21, v32
	v_fma_f32 v21, v32, v27, -v33
	v_fma_f32 v22, v32, v28, -v31
	global_store_b64 v[23:24], v[29:30], off offset:-4
	v_dual_mov_b32 v23, v25 :: v_dual_mov_b32 v24, v26
	s_cbranch_scc0 .LBB17_208
	s_branch .LBB17_206
.LBB17_209:                             ;   in Loop: Header=BB17_133 Depth=2
	s_or_b32 exec_lo, exec_lo, s58
                                        ; implicit-def: $vgpr21
	s_and_not1_saveexec_b32 s1, s37
	s_cbranch_execnz .LBB17_201
	s_branch .LBB17_202
.LBB17_210:                             ;   in Loop: Header=BB17_7 Depth=1
	v_mov_b32_e32 v21, v13
	v_dual_mov_b32 v23, v15 :: v_dual_mov_b32 v22, v14
	v_dual_mov_b32 v17, v41 :: v_dual_mov_b32 v20, v12
.LBB17_211:                             ;   in Loop: Header=BB17_7 Depth=1
	s_barrier
	buffer_gl0_inv
	ds_load_b32 v18, v0 offset:24
	s_waitcnt lgkmcnt(0)
	v_cmp_nlt_f32_e32 vcc_lo, s27, v18
	s_cbranch_vccnz .LBB17_218
; %bb.212:                              ;   in Loop: Header=BB17_7 Depth=1
	v_div_scale_f32 v14, null, v18, v18, s27
	v_div_scale_f32 v16, vcc_lo, s27, v18, s27
	s_delay_alu instid0(VALU_DEP_2) | instskip(SKIP_2) | instid1(VALU_DEP_1)
	v_rcp_f32_e32 v15, v14
	s_waitcnt_depctr 0xfff
	v_fma_f32 v12, -v14, v15, 1.0
	v_fmac_f32_e32 v15, v12, v15
	ds_load_2addr_b32 v[12:13], v0 offset0:4 offset1:8
	v_mul_f32_e32 v19, v16, v15
	s_delay_alu instid0(VALU_DEP_1) | instskip(NEXT) | instid1(VALU_DEP_1)
	v_fma_f32 v24, -v14, v19, v16
	v_fmac_f32_e32 v19, v24, v15
	s_delay_alu instid0(VALU_DEP_1) | instskip(NEXT) | instid1(VALU_DEP_1)
	v_fma_f32 v14, -v14, v19, v16
	v_div_fmas_f32 v14, v14, v15, v19
	s_delay_alu instid0(VALU_DEP_1)
	v_div_fixup_f32 v19, v14, v18, s27
	s_and_saveexec_b32 s1, s2
	s_cbranch_execz .LBB17_214
; %bb.213:                              ;   in Loop: Header=BB17_7 Depth=1
	s_waitcnt lgkmcnt(0)
	v_ashrrev_i32_e32 v15, 31, v13
	v_mov_b32_e32 v14, v13
	s_delay_alu instid0(VALU_DEP_1) | instskip(NEXT) | instid1(VALU_DEP_1)
	v_lshlrev_b64 v[14:15], 2, v[14:15]
	v_add_co_u32 v14, vcc_lo, s18, v14
	s_delay_alu instid0(VALU_DEP_2)
	v_add_co_ci_u32_e32 v15, vcc_lo, s19, v15, vcc_lo
	global_load_b32 v16, v[14:15], off
	s_waitcnt vmcnt(0)
	v_mul_f32_e32 v16, v19, v16
	global_store_b32 v[14:15], v16, off
.LBB17_214:                             ;   in Loop: Header=BB17_7 Depth=1
	s_or_b32 exec_lo, exec_lo, s1
	s_waitcnt lgkmcnt(0)
	v_add_nc_u32_e32 v14, v12, v1
	s_mov_b32 s3, exec_lo
	s_delay_alu instid0(VALU_DEP_1)
	v_cmpx_lt_i32_e64 v14, v13
	s_cbranch_execz .LBB17_217
; %bb.215:                              ;   in Loop: Header=BB17_7 Depth=1
	v_ashrrev_i32_e32 v15, 31, v14
	s_mov_b32 s4, 0
	s_delay_alu instid0(VALU_DEP_1)
	v_lshlrev_b64 v[15:16], 2, v[14:15]
	.p2align	6
.LBB17_216:                             ;   Parent Loop BB17_7 Depth=1
                                        ; =>  This Inner Loop Header: Depth=2
	s_delay_alu instid0(VALU_DEP_1) | instskip(NEXT) | instid1(VALU_DEP_2)
	v_add_co_u32 v24, vcc_lo, s18, v15
	v_add_co_ci_u32_e32 v25, vcc_lo, s19, v16, vcc_lo
	v_add_co_u32 v26, vcc_lo, s10, v15
	v_add_co_ci_u32_e32 v27, vcc_lo, s33, v16, vcc_lo
	global_load_b32 v12, v[24:25], off
	v_add_nc_u32_e32 v14, s30, v14
	v_add_co_u32 v15, vcc_lo, v15, s48
	v_add_co_ci_u32_e32 v16, vcc_lo, s49, v16, vcc_lo
	s_delay_alu instid0(VALU_DEP_3) | instskip(NEXT) | instid1(VALU_DEP_1)
	v_cmp_ge_i32_e64 s1, v14, v13
	s_or_b32 s4, s1, s4
	s_waitcnt vmcnt(0)
	v_mul_f32_e32 v12, v19, v12
	global_store_b32 v[24:25], v12, off
	global_load_b32 v12, v[26:27], off
	s_waitcnt vmcnt(0)
	v_mul_f32_e32 v12, v19, v12
	global_store_b32 v[26:27], v12, off
	s_and_not1_b32 exec_lo, exec_lo, s4
	s_cbranch_execnz .LBB17_216
.LBB17_217:                             ;   in Loop: Header=BB17_7 Depth=1
	s_or_b32 exec_lo, exec_lo, s3
.LBB17_218:                             ;   in Loop: Header=BB17_7 Depth=1
	v_cmp_ngt_f32_e32 vcc_lo, s26, v18
	s_cbranch_vccnz .LBB17_5
; %bb.219:                              ;   in Loop: Header=BB17_7 Depth=1
	v_div_scale_f32 v14, null, v18, v18, s26
	v_div_scale_f32 v16, vcc_lo, s26, v18, s26
	s_delay_alu instid0(VALU_DEP_2) | instskip(SKIP_2) | instid1(VALU_DEP_1)
	v_rcp_f32_e32 v15, v14
	s_waitcnt_depctr 0xfff
	v_fma_f32 v12, -v14, v15, 1.0
	v_fmac_f32_e32 v15, v12, v15
	ds_load_2addr_b32 v[12:13], v0 offset0:4 offset1:8
	v_mul_f32_e32 v19, v16, v15
	s_delay_alu instid0(VALU_DEP_1) | instskip(NEXT) | instid1(VALU_DEP_1)
	v_fma_f32 v24, -v14, v19, v16
	v_fmac_f32_e32 v19, v24, v15
	s_delay_alu instid0(VALU_DEP_1) | instskip(NEXT) | instid1(VALU_DEP_1)
	v_fma_f32 v14, -v14, v19, v16
	v_div_fmas_f32 v14, v14, v15, v19
	s_delay_alu instid0(VALU_DEP_1)
	v_div_fixup_f32 v18, v14, v18, s26
	s_and_saveexec_b32 s1, s2
	s_cbranch_execz .LBB17_221
; %bb.220:                              ;   in Loop: Header=BB17_7 Depth=1
	s_waitcnt lgkmcnt(0)
	v_ashrrev_i32_e32 v15, 31, v13
	v_mov_b32_e32 v14, v13
	s_delay_alu instid0(VALU_DEP_1) | instskip(NEXT) | instid1(VALU_DEP_1)
	v_lshlrev_b64 v[14:15], 2, v[14:15]
	v_add_co_u32 v14, vcc_lo, s18, v14
	s_delay_alu instid0(VALU_DEP_2)
	v_add_co_ci_u32_e32 v15, vcc_lo, s19, v15, vcc_lo
	global_load_b32 v16, v[14:15], off
	s_waitcnt vmcnt(0)
	v_mul_f32_e32 v16, v18, v16
	global_store_b32 v[14:15], v16, off
.LBB17_221:                             ;   in Loop: Header=BB17_7 Depth=1
	s_or_b32 exec_lo, exec_lo, s1
	s_waitcnt lgkmcnt(0)
	v_add_nc_u32_e32 v14, v12, v1
	s_mov_b32 s3, exec_lo
	s_delay_alu instid0(VALU_DEP_1)
	v_cmpx_lt_i32_e64 v14, v13
	s_cbranch_execz .LBB17_4
; %bb.222:                              ;   in Loop: Header=BB17_7 Depth=1
	v_ashrrev_i32_e32 v15, 31, v14
	s_mov_b32 s4, 0
	s_delay_alu instid0(VALU_DEP_1)
	v_lshlrev_b64 v[15:16], 2, v[14:15]
	.p2align	6
.LBB17_223:                             ;   Parent Loop BB17_7 Depth=1
                                        ; =>  This Inner Loop Header: Depth=2
	s_delay_alu instid0(VALU_DEP_1) | instskip(NEXT) | instid1(VALU_DEP_2)
	v_add_co_u32 v24, vcc_lo, s18, v15
	v_add_co_ci_u32_e32 v25, vcc_lo, s19, v16, vcc_lo
	v_add_co_u32 v26, vcc_lo, s10, v15
	v_add_co_ci_u32_e32 v27, vcc_lo, s33, v16, vcc_lo
	global_load_b32 v12, v[24:25], off
	v_add_nc_u32_e32 v14, s30, v14
	v_add_co_u32 v15, vcc_lo, v15, s48
	v_add_co_ci_u32_e32 v16, vcc_lo, s49, v16, vcc_lo
	s_delay_alu instid0(VALU_DEP_3) | instskip(NEXT) | instid1(VALU_DEP_1)
	v_cmp_ge_i32_e64 s1, v14, v13
	s_or_b32 s4, s1, s4
	s_waitcnt vmcnt(0)
	v_mul_f32_e32 v12, v18, v12
	global_store_b32 v[24:25], v12, off
	global_load_b32 v12, v[26:27], off
	s_waitcnt vmcnt(0)
	v_mul_f32_e32 v12, v18, v12
	global_store_b32 v[26:27], v12, off
	s_and_not1_b32 exec_lo, exec_lo, s4
	s_cbranch_execnz .LBB17_223
	s_branch .LBB17_4
.LBB17_224:
	s_mov_b32 s1, exec_lo
	v_cmpx_gt_i32_e64 s36, v1
	s_cbranch_execz .LBB17_230
; %bb.225:
	v_ashrrev_i32_e32 v2, 31, v1
	s_lshl_b64 s[4:5], s[28:29], 2
	v_mov_b32_e32 v0, 0
	s_add_u32 s4, s14, s4
	s_addc_u32 s5, s15, s5
	v_lshlrev_b64 v[2:3], 2, v[1:2]
	s_lshl_b64 s[14:15], s[38:39], 2
	s_delay_alu instid0(SALU_CYCLE_1) | instskip(SKIP_2) | instid1(VALU_DEP_1)
	s_add_u32 s0, s20, s14
	s_addc_u32 s3, s21, s15
	s_ashr_i32 s31, s30, 31
	v_add_co_u32 v2, vcc_lo, s0, v2
	v_add_co_ci_u32_e32 v3, vcc_lo, s3, v3, vcc_lo
	s_lshl_b64 s[14:15], s[30:31], 2
	s_mov_b32 s3, 0
	s_set_inst_prefetch_distance 0x1
	s_branch .LBB17_227
	.p2align	6
.LBB17_226:                             ;   in Loop: Header=BB17_227 Depth=1
	s_or_b32 exec_lo, exec_lo, s0
	v_add_nc_u32_e32 v1, s30, v1
	v_add_co_u32 v2, s0, v2, s14
	s_delay_alu instid0(VALU_DEP_1) | instskip(NEXT) | instid1(VALU_DEP_3)
	v_add_co_ci_u32_e64 v3, s0, s15, v3, s0
	v_cmp_le_i32_e32 vcc_lo, s36, v1
	s_or_b32 s3, vcc_lo, s3
	s_delay_alu instid0(SALU_CYCLE_1)
	s_and_not1_b32 exec_lo, exec_lo, s3
	s_cbranch_execz .LBB17_230
.LBB17_227:                             ; =>This Inner Loop Header: Depth=1
	global_load_b32 v4, v[2:3], off
	s_mov_b32 s0, exec_lo
	s_waitcnt vmcnt(0)
	v_cmpx_neq_f32_e32 0, v4
	s_cbranch_execz .LBB17_226
; %bb.228:                              ;   in Loop: Header=BB17_227 Depth=1
	s_mov_b32 s7, exec_lo
	s_delay_alu instid0(SALU_CYCLE_1) | instskip(NEXT) | instid1(VALU_DEP_1)
	v_mbcnt_lo_u32_b32 v4, s7, 0
	v_cmp_eq_u32_e32 vcc_lo, 0, v4
	s_and_b32 s10, exec_lo, vcc_lo
	s_delay_alu instid0(SALU_CYCLE_1)
	s_mov_b32 exec_lo, s10
	s_cbranch_execz .LBB17_226
; %bb.229:                              ;   in Loop: Header=BB17_227 Depth=1
	s_bcnt1_i32_b32 s7, s7
	s_delay_alu instid0(SALU_CYCLE_1)
	v_mov_b32_e32 v4, s7
	global_atomic_add_u32 v0, v4, s[4:5]
	s_branch .LBB17_226
.LBB17_230:
	s_set_inst_prefetch_distance 0x2
	s_or_b32 exec_lo, exec_lo, s1
	s_cmp_lt_i32 s6, 2
	s_cbranch_scc1 .LBB17_243
; %bb.231:
	s_add_u32 s3, s18, -4
	s_addc_u32 s7, s19, -1
	s_add_u32 s0, s22, s16
	s_addc_u32 s1, s23, s17
	s_add_u32 s0, s0, 4
	s_addc_u32 s1, s1, 0
	s_lshl_b64 s[4:5], s[12:13], 3
	s_lshl_b64 s[12:13], s[34:35], 3
	v_mov_b32_e32 v0, 0
	s_add_u32 s4, s4, s12
	s_addc_u32 s5, s5, s13
	s_add_u32 s10, s8, s4
	s_addc_u32 s16, s9, s5
	s_mov_b32 s4, 1
	s_branch .LBB17_233
.LBB17_232:                             ;   in Loop: Header=BB17_233 Depth=1
	s_add_i32 s4, s4, 1
	s_add_u32 s0, s0, 4
	s_addc_u32 s1, s1, 0
	s_cmp_lg_u32 s4, s6
	s_waitcnt_vscnt null, 0x0
	s_barrier
	buffer_gl0_inv
	s_cbranch_scc0 .LBB17_243
.LBB17_233:                             ; =>This Loop Header: Depth=1
                                        ;     Child Loop BB17_236 Depth 2
                                        ;     Child Loop BB17_242 Depth 2
	s_and_saveexec_b32 s17, s2
	s_cbranch_execz .LBB17_240
; %bb.234:                              ;   in Loop: Header=BB17_233 Depth=1
	s_ashr_i32 s5, s4, 31
	s_mov_b64 s[12:13], s[0:1]
	s_lshl_b64 s[8:9], s[4:5], 2
	s_add_i32 s5, s4, -1
	s_add_u32 s8, s3, s8
	s_addc_u32 s9, s7, s9
	v_dual_mov_b32 v3, s5 :: v_dual_mov_b32 v4, s5
	global_load_b32 v1, v0, s[8:9]
	s_mov_b32 s14, s5
	s_mov_b32 s15, s4
	ds_store_b64 v0, v[3:4]
	s_waitcnt vmcnt(0)
	ds_store_b32 v0, v1 offset:8
	v_mov_b32_e32 v2, v1
	s_branch .LBB17_236
.LBB17_235:                             ;   in Loop: Header=BB17_236 Depth=2
	s_add_i32 s15, s15, 1
	s_add_u32 s12, s12, 4
	s_addc_u32 s13, s13, 0
	s_cmp_ge_i32 s15, s6
	s_cbranch_scc1 .LBB17_238
.LBB17_236:                             ;   Parent Loop BB17_233 Depth=1
                                        ; =>  This Inner Loop Header: Depth=2
	global_load_b32 v3, v0, s[12:13]
	s_waitcnt vmcnt(0)
	v_cmp_nlt_f32_e32 vcc_lo, v3, v2
	s_cbranch_vccnz .LBB17_235
; %bb.237:                              ;   in Loop: Header=BB17_236 Depth=2
	v_mov_b32_e32 v4, s15
	v_mov_b32_e32 v2, v3
	s_mov_b32 s14, s15
	ds_store_2addr_b32 v0, v4, v3 offset0:1 offset1:2
	s_branch .LBB17_235
.LBB17_238:                             ;   in Loop: Header=BB17_233 Depth=1
	s_cmp_lg_u32 s14, s5
	s_cbranch_scc0 .LBB17_240
; %bb.239:                              ;   in Loop: Header=BB17_233 Depth=1
	s_ashr_i32 s15, s14, 31
	s_delay_alu instid0(SALU_CYCLE_1) | instskip(NEXT) | instid1(SALU_CYCLE_1)
	s_lshl_b64 s[12:13], s[14:15], 2
	s_add_u32 s12, s18, s12
	s_addc_u32 s13, s19, s13
	s_clause 0x1
	global_store_b32 v0, v1, s[12:13]
	global_store_b32 v0, v2, s[8:9]
.LBB17_240:                             ;   in Loop: Header=BB17_233 Depth=1
	s_or_b32 exec_lo, exec_lo, s17
	s_waitcnt lgkmcnt(0)
	s_waitcnt_vscnt null, 0x0
	s_barrier
	buffer_gl0_inv
	ds_load_b64 v[1:2], v0
	s_waitcnt lgkmcnt(0)
	v_readfirstlane_b32 s5, v1
	v_readfirstlane_b32 s8, v2
	s_delay_alu instid0(VALU_DEP_1)
	s_cmp_eq_u32 s8, s5
	s_cbranch_scc1 .LBB17_232
; %bb.241:                              ;   in Loop: Header=BB17_233 Depth=1
	s_mul_i32 s8, s8, s11
	s_mul_i32 s12, s5, s11
	s_ashr_i32 s9, s8, 31
	s_mov_b32 s5, s6
	s_lshl_b64 s[8:9], s[8:9], 3
	s_delay_alu instid0(SALU_CYCLE_1) | instskip(SKIP_2) | instid1(SALU_CYCLE_1)
	s_add_u32 s8, s10, s8
	s_addc_u32 s9, s16, s9
	s_ashr_i32 s13, s12, 31
	s_lshl_b64 s[12:13], s[12:13], 3
	s_delay_alu instid0(SALU_CYCLE_1)
	s_add_u32 s12, s10, s12
	s_addc_u32 s13, s16, s13
.LBB17_242:                             ;   Parent Loop BB17_233 Depth=1
                                        ; =>  This Inner Loop Header: Depth=2
	s_clause 0x1
	global_load_b64 v[1:2], v0, s[8:9]
	global_load_b64 v[3:4], v0, s[12:13]
	s_add_i32 s5, s5, -1
	s_waitcnt vmcnt(1)
	global_store_b64 v0, v[1:2], s[12:13]
	s_waitcnt vmcnt(0)
	global_store_b64 v0, v[3:4], s[8:9]
	s_add_u32 s8, s8, 8
	s_addc_u32 s9, s9, 0
	s_add_u32 s12, s12, 8
	s_addc_u32 s13, s13, 0
	s_cmp_lg_u32 s5, 0
	s_cbranch_scc1 .LBB17_242
	s_branch .LBB17_232
.LBB17_243:
	s_nop 0
	s_sendmsg sendmsg(MSG_DEALLOC_VGPRS)
	s_endpgm
	.section	.rodata,"a",@progbits
	.p2align	6, 0x0
	.amdhsa_kernel _ZN9rocsolver6v33100L12steqr_kernelI19rocblas_complex_numIfEfPS3_EEviPT0_lS6_lT1_iilPiS6_iS5_S5_S5_
		.amdhsa_group_segment_fixed_size 36
		.amdhsa_private_segment_fixed_size 0
		.amdhsa_kernarg_size 352
		.amdhsa_user_sgpr_count 14
		.amdhsa_user_sgpr_dispatch_ptr 0
		.amdhsa_user_sgpr_queue_ptr 0
		.amdhsa_user_sgpr_kernarg_segment_ptr 1
		.amdhsa_user_sgpr_dispatch_id 0
		.amdhsa_user_sgpr_private_segment_size 0
		.amdhsa_wavefront_size32 1
		.amdhsa_uses_dynamic_stack 0
		.amdhsa_enable_private_segment 0
		.amdhsa_system_sgpr_workgroup_id_x 1
		.amdhsa_system_sgpr_workgroup_id_y 1
		.amdhsa_system_sgpr_workgroup_id_z 0
		.amdhsa_system_sgpr_workgroup_info 0
		.amdhsa_system_vgpr_workitem_id 0
		.amdhsa_next_free_vgpr 66
		.amdhsa_next_free_sgpr 86
		.amdhsa_reserve_vcc 1
		.amdhsa_float_round_mode_32 0
		.amdhsa_float_round_mode_16_64 0
		.amdhsa_float_denorm_mode_32 3
		.amdhsa_float_denorm_mode_16_64 3
		.amdhsa_dx10_clamp 1
		.amdhsa_ieee_mode 1
		.amdhsa_fp16_overflow 0
		.amdhsa_workgroup_processor_mode 1
		.amdhsa_memory_ordered 1
		.amdhsa_forward_progress 0
		.amdhsa_shared_vgpr_count 0
		.amdhsa_exception_fp_ieee_invalid_op 0
		.amdhsa_exception_fp_denorm_src 0
		.amdhsa_exception_fp_ieee_div_zero 0
		.amdhsa_exception_fp_ieee_overflow 0
		.amdhsa_exception_fp_ieee_underflow 0
		.amdhsa_exception_fp_ieee_inexact 0
		.amdhsa_exception_int_div_zero 0
	.end_amdhsa_kernel
	.section	.text._ZN9rocsolver6v33100L12steqr_kernelI19rocblas_complex_numIfEfPS3_EEviPT0_lS6_lT1_iilPiS6_iS5_S5_S5_,"axG",@progbits,_ZN9rocsolver6v33100L12steqr_kernelI19rocblas_complex_numIfEfPS3_EEviPT0_lS6_lT1_iilPiS6_iS5_S5_S5_,comdat
.Lfunc_end17:
	.size	_ZN9rocsolver6v33100L12steqr_kernelI19rocblas_complex_numIfEfPS3_EEviPT0_lS6_lT1_iilPiS6_iS5_S5_S5_, .Lfunc_end17-_ZN9rocsolver6v33100L12steqr_kernelI19rocblas_complex_numIfEfPS3_EEviPT0_lS6_lT1_iilPiS6_iS5_S5_S5_
                                        ; -- End function
	.section	.AMDGPU.csdata,"",@progbits
; Kernel info:
; codeLenInByte = 15672
; NumSgprs: 88
; NumVgprs: 66
; ScratchSize: 0
; MemoryBound: 0
; FloatMode: 240
; IeeeMode: 1
; LDSByteSize: 36 bytes/workgroup (compile time only)
; SGPRBlocks: 10
; VGPRBlocks: 8
; NumSGPRsForWavesPerEU: 88
; NumVGPRsForWavesPerEU: 66
; Occupancy: 16
; WaveLimiterHint : 0
; COMPUTE_PGM_RSRC2:SCRATCH_EN: 0
; COMPUTE_PGM_RSRC2:USER_SGPR: 14
; COMPUTE_PGM_RSRC2:TRAP_HANDLER: 0
; COMPUTE_PGM_RSRC2:TGID_X_EN: 1
; COMPUTE_PGM_RSRC2:TGID_Y_EN: 1
; COMPUTE_PGM_RSRC2:TGID_Z_EN: 0
; COMPUTE_PGM_RSRC2:TIDIG_COMP_CNT: 0
	.section	.text._ZN9rocsolver6v33100L16reset_batch_infoI19rocblas_complex_numIdEiiPS3_EEvT2_lT0_T1_,"axG",@progbits,_ZN9rocsolver6v33100L16reset_batch_infoI19rocblas_complex_numIdEiiPS3_EEvT2_lT0_T1_,comdat
	.globl	_ZN9rocsolver6v33100L16reset_batch_infoI19rocblas_complex_numIdEiiPS3_EEvT2_lT0_T1_ ; -- Begin function _ZN9rocsolver6v33100L16reset_batch_infoI19rocblas_complex_numIdEiiPS3_EEvT2_lT0_T1_
	.p2align	8
	.type	_ZN9rocsolver6v33100L16reset_batch_infoI19rocblas_complex_numIdEiiPS3_EEvT2_lT0_T1_,@function
_ZN9rocsolver6v33100L16reset_batch_infoI19rocblas_complex_numIdEiiPS3_EEvT2_lT0_T1_: ; @_ZN9rocsolver6v33100L16reset_batch_infoI19rocblas_complex_numIdEiiPS3_EEvT2_lT0_T1_
; %bb.0:
	s_clause 0x1
	s_load_b32 s4, s[0:1], 0x24
	s_load_b64 s[2:3], s[0:1], 0x10
	s_waitcnt lgkmcnt(0)
	s_and_b32 s4, s4, 0xffff
	s_delay_alu instid0(SALU_CYCLE_1) | instskip(NEXT) | instid1(VALU_DEP_1)
	v_mad_u64_u32 v[1:2], null, s14, s4, v[0:1]
	v_cmp_gt_i32_e32 vcc_lo, s2, v1
	s_and_saveexec_b32 s2, vcc_lo
	s_cbranch_execz .LBB18_2
; %bb.1:
	v_cvt_f64_i32_e32 v[3:4], s3
	s_load_b128 s[4:7], s[0:1], 0x0
	v_ashrrev_i32_e32 v2, 31, v1
	s_ashr_i32 s0, s15, 31
	v_mov_b32_e32 v5, 0
	s_delay_alu instid0(VALU_DEP_2) | instskip(NEXT) | instid1(VALU_DEP_2)
	v_lshlrev_b64 v[0:1], 4, v[1:2]
	v_mov_b32_e32 v6, v5
	s_waitcnt lgkmcnt(0)
	s_mul_i32 s1, s15, s7
	s_mul_hi_u32 s2, s15, s6
	s_mul_i32 s3, s0, s6
	s_add_i32 s1, s2, s1
	s_mul_i32 s0, s15, s6
	s_add_i32 s1, s1, s3
	s_delay_alu instid0(SALU_CYCLE_1) | instskip(NEXT) | instid1(SALU_CYCLE_1)
	s_lshl_b64 s[0:1], s[0:1], 4
	s_add_u32 s0, s4, s0
	s_addc_u32 s1, s5, s1
	v_add_co_u32 v0, vcc_lo, s0, v0
	v_add_co_ci_u32_e32 v1, vcc_lo, s1, v1, vcc_lo
	global_store_b128 v[0:1], v[3:6], off
.LBB18_2:
	s_nop 0
	s_sendmsg sendmsg(MSG_DEALLOC_VGPRS)
	s_endpgm
	.section	.rodata,"a",@progbits
	.p2align	6, 0x0
	.amdhsa_kernel _ZN9rocsolver6v33100L16reset_batch_infoI19rocblas_complex_numIdEiiPS3_EEvT2_lT0_T1_
		.amdhsa_group_segment_fixed_size 0
		.amdhsa_private_segment_fixed_size 0
		.amdhsa_kernarg_size 280
		.amdhsa_user_sgpr_count 14
		.amdhsa_user_sgpr_dispatch_ptr 0
		.amdhsa_user_sgpr_queue_ptr 0
		.amdhsa_user_sgpr_kernarg_segment_ptr 1
		.amdhsa_user_sgpr_dispatch_id 0
		.amdhsa_user_sgpr_private_segment_size 0
		.amdhsa_wavefront_size32 1
		.amdhsa_uses_dynamic_stack 0
		.amdhsa_enable_private_segment 0
		.amdhsa_system_sgpr_workgroup_id_x 1
		.amdhsa_system_sgpr_workgroup_id_y 1
		.amdhsa_system_sgpr_workgroup_id_z 0
		.amdhsa_system_sgpr_workgroup_info 0
		.amdhsa_system_vgpr_workitem_id 0
		.amdhsa_next_free_vgpr 7
		.amdhsa_next_free_sgpr 16
		.amdhsa_reserve_vcc 1
		.amdhsa_float_round_mode_32 0
		.amdhsa_float_round_mode_16_64 0
		.amdhsa_float_denorm_mode_32 3
		.amdhsa_float_denorm_mode_16_64 3
		.amdhsa_dx10_clamp 1
		.amdhsa_ieee_mode 1
		.amdhsa_fp16_overflow 0
		.amdhsa_workgroup_processor_mode 1
		.amdhsa_memory_ordered 1
		.amdhsa_forward_progress 0
		.amdhsa_shared_vgpr_count 0
		.amdhsa_exception_fp_ieee_invalid_op 0
		.amdhsa_exception_fp_denorm_src 0
		.amdhsa_exception_fp_ieee_div_zero 0
		.amdhsa_exception_fp_ieee_overflow 0
		.amdhsa_exception_fp_ieee_underflow 0
		.amdhsa_exception_fp_ieee_inexact 0
		.amdhsa_exception_int_div_zero 0
	.end_amdhsa_kernel
	.section	.text._ZN9rocsolver6v33100L16reset_batch_infoI19rocblas_complex_numIdEiiPS3_EEvT2_lT0_T1_,"axG",@progbits,_ZN9rocsolver6v33100L16reset_batch_infoI19rocblas_complex_numIdEiiPS3_EEvT2_lT0_T1_,comdat
.Lfunc_end18:
	.size	_ZN9rocsolver6v33100L16reset_batch_infoI19rocblas_complex_numIdEiiPS3_EEvT2_lT0_T1_, .Lfunc_end18-_ZN9rocsolver6v33100L16reset_batch_infoI19rocblas_complex_numIdEiiPS3_EEvT2_lT0_T1_
                                        ; -- End function
	.section	.AMDGPU.csdata,"",@progbits
; Kernel info:
; codeLenInByte = 172
; NumSgprs: 18
; NumVgprs: 7
; ScratchSize: 0
; MemoryBound: 0
; FloatMode: 240
; IeeeMode: 1
; LDSByteSize: 0 bytes/workgroup (compile time only)
; SGPRBlocks: 2
; VGPRBlocks: 0
; NumSGPRsForWavesPerEU: 18
; NumVGPRsForWavesPerEU: 7
; Occupancy: 16
; WaveLimiterHint : 0
; COMPUTE_PGM_RSRC2:SCRATCH_EN: 0
; COMPUTE_PGM_RSRC2:USER_SGPR: 14
; COMPUTE_PGM_RSRC2:TRAP_HANDLER: 0
; COMPUTE_PGM_RSRC2:TGID_X_EN: 1
; COMPUTE_PGM_RSRC2:TGID_Y_EN: 1
; COMPUTE_PGM_RSRC2:TGID_Z_EN: 0
; COMPUTE_PGM_RSRC2:TIDIG_COMP_CNT: 0
	.section	.text._ZN9rocsolver6v33100L10init_identI19rocblas_complex_numIdEPS3_EEviiT0_iil,"axG",@progbits,_ZN9rocsolver6v33100L10init_identI19rocblas_complex_numIdEPS3_EEviiT0_iil,comdat
	.globl	_ZN9rocsolver6v33100L10init_identI19rocblas_complex_numIdEPS3_EEviiT0_iil ; -- Begin function _ZN9rocsolver6v33100L10init_identI19rocblas_complex_numIdEPS3_EEviiT0_iil
	.p2align	8
	.type	_ZN9rocsolver6v33100L10init_identI19rocblas_complex_numIdEPS3_EEviiT0_iil,@function
_ZN9rocsolver6v33100L10init_identI19rocblas_complex_numIdEPS3_EEviiT0_iil: ; @_ZN9rocsolver6v33100L10init_identI19rocblas_complex_numIdEPS3_EEviiT0_iil
; %bb.0:
	s_clause 0x1
	s_load_b32 s4, s[0:1], 0x2c
	s_load_b64 s[2:3], s[0:1], 0x0
	v_and_b32_e32 v1, 0x3ff, v0
	v_bfe_u32 v2, v0, 10, 10
	s_waitcnt lgkmcnt(0)
	s_lshr_b32 s5, s4, 16
	s_and_b32 s4, s4, 0xffff
	s_delay_alu instid0(VALU_DEP_1) | instid1(SALU_CYCLE_1)
	v_mad_u64_u32 v[4:5], null, s13, s4, v[1:2]
	v_mad_u64_u32 v[0:1], null, s14, s5, v[2:3]
	s_delay_alu instid0(VALU_DEP_2) | instskip(NEXT) | instid1(VALU_DEP_2)
	v_cmp_gt_u32_e32 vcc_lo, s2, v4
	v_cmp_gt_u32_e64 s2, s3, v0
	s_delay_alu instid0(VALU_DEP_1) | instskip(NEXT) | instid1(SALU_CYCLE_1)
	s_and_b32 s2, vcc_lo, s2
	s_and_saveexec_b32 s3, s2
	s_cbranch_execz .LBB19_6
; %bb.1:
	s_load_b64 s[2:3], s[0:1], 0x10
	s_mov_b32 s6, exec_lo
                                        ; implicit-def: $sgpr4_sgpr5
                                        ; implicit-def: $vgpr2
	v_cmpx_ne_u32_e64 v4, v0
	s_xor_b32 s6, exec_lo, s6
	s_cbranch_execz .LBB19_3
; %bb.2:
	s_waitcnt lgkmcnt(0)
	v_mad_u64_u32 v[2:3], null, v0, s3, v[4:5]
	s_mov_b64 s[4:5], 0
                                        ; implicit-def: $vgpr4_vgpr5
.LBB19_3:
	s_or_saveexec_b32 s6, s6
	v_dual_mov_b32 v0, s4 :: v_dual_mov_b32 v1, s5
	s_xor_b32 exec_lo, exec_lo, s6
	s_cbranch_execz .LBB19_5
; %bb.4:
	s_waitcnt lgkmcnt(0)
	v_mad_u64_u32 v[2:3], null, v4, s3, v[4:5]
	v_mov_b32_e32 v0, 0
	v_mov_b32_e32 v1, 0x3ff00000
.LBB19_5:
	s_or_b32 exec_lo, exec_lo, s6
	s_clause 0x1
	s_load_b64 s[4:5], s[0:1], 0x18
	s_load_b64 s[0:1], s[0:1], 0x8
	v_mov_b32_e32 v3, 0
	s_delay_alu instid0(VALU_DEP_1)
	v_lshlrev_b64 v[4:5], 4, v[2:3]
	v_mov_b32_e32 v2, v3
	s_waitcnt lgkmcnt(0)
	s_mul_i32 s3, s15, s5
	s_mul_hi_u32 s5, s15, s4
	s_mul_i32 s4, s15, s4
	s_add_i32 s5, s5, s3
	s_ashr_i32 s3, s2, 31
	s_lshl_b64 s[4:5], s[4:5], 4
	s_delay_alu instid0(SALU_CYCLE_1) | instskip(SKIP_2) | instid1(SALU_CYCLE_1)
	s_add_u32 s4, s0, s4
	s_addc_u32 s5, s1, s5
	s_lshl_b64 s[0:1], s[2:3], 4
	s_add_u32 s0, s4, s0
	s_addc_u32 s1, s5, s1
	v_add_co_u32 v4, vcc_lo, s0, v4
	v_add_co_ci_u32_e32 v5, vcc_lo, s1, v5, vcc_lo
	global_store_b128 v[4:5], v[0:3], off
.LBB19_6:
	s_nop 0
	s_sendmsg sendmsg(MSG_DEALLOC_VGPRS)
	s_endpgm
	.section	.rodata,"a",@progbits
	.p2align	6, 0x0
	.amdhsa_kernel _ZN9rocsolver6v33100L10init_identI19rocblas_complex_numIdEPS3_EEviiT0_iil
		.amdhsa_group_segment_fixed_size 0
		.amdhsa_private_segment_fixed_size 0
		.amdhsa_kernarg_size 288
		.amdhsa_user_sgpr_count 13
		.amdhsa_user_sgpr_dispatch_ptr 0
		.amdhsa_user_sgpr_queue_ptr 0
		.amdhsa_user_sgpr_kernarg_segment_ptr 1
		.amdhsa_user_sgpr_dispatch_id 0
		.amdhsa_user_sgpr_private_segment_size 0
		.amdhsa_wavefront_size32 1
		.amdhsa_uses_dynamic_stack 0
		.amdhsa_enable_private_segment 0
		.amdhsa_system_sgpr_workgroup_id_x 1
		.amdhsa_system_sgpr_workgroup_id_y 1
		.amdhsa_system_sgpr_workgroup_id_z 1
		.amdhsa_system_sgpr_workgroup_info 0
		.amdhsa_system_vgpr_workitem_id 1
		.amdhsa_next_free_vgpr 6
		.amdhsa_next_free_sgpr 16
		.amdhsa_reserve_vcc 1
		.amdhsa_float_round_mode_32 0
		.amdhsa_float_round_mode_16_64 0
		.amdhsa_float_denorm_mode_32 3
		.amdhsa_float_denorm_mode_16_64 3
		.amdhsa_dx10_clamp 1
		.amdhsa_ieee_mode 1
		.amdhsa_fp16_overflow 0
		.amdhsa_workgroup_processor_mode 1
		.amdhsa_memory_ordered 1
		.amdhsa_forward_progress 0
		.amdhsa_shared_vgpr_count 0
		.amdhsa_exception_fp_ieee_invalid_op 0
		.amdhsa_exception_fp_denorm_src 0
		.amdhsa_exception_fp_ieee_div_zero 0
		.amdhsa_exception_fp_ieee_overflow 0
		.amdhsa_exception_fp_ieee_underflow 0
		.amdhsa_exception_fp_ieee_inexact 0
		.amdhsa_exception_int_div_zero 0
	.end_amdhsa_kernel
	.section	.text._ZN9rocsolver6v33100L10init_identI19rocblas_complex_numIdEPS3_EEviiT0_iil,"axG",@progbits,_ZN9rocsolver6v33100L10init_identI19rocblas_complex_numIdEPS3_EEviiT0_iil,comdat
.Lfunc_end19:
	.size	_ZN9rocsolver6v33100L10init_identI19rocblas_complex_numIdEPS3_EEviiT0_iil, .Lfunc_end19-_ZN9rocsolver6v33100L10init_identI19rocblas_complex_numIdEPS3_EEviiT0_iil
                                        ; -- End function
	.section	.AMDGPU.csdata,"",@progbits
; Kernel info:
; codeLenInByte = 320
; NumSgprs: 18
; NumVgprs: 6
; ScratchSize: 0
; MemoryBound: 0
; FloatMode: 240
; IeeeMode: 1
; LDSByteSize: 0 bytes/workgroup (compile time only)
; SGPRBlocks: 2
; VGPRBlocks: 0
; NumSGPRsForWavesPerEU: 18
; NumVGPRsForWavesPerEU: 6
; Occupancy: 16
; WaveLimiterHint : 0
; COMPUTE_PGM_RSRC2:SCRATCH_EN: 0
; COMPUTE_PGM_RSRC2:USER_SGPR: 13
; COMPUTE_PGM_RSRC2:TRAP_HANDLER: 0
; COMPUTE_PGM_RSRC2:TGID_X_EN: 1
; COMPUTE_PGM_RSRC2:TGID_Y_EN: 1
; COMPUTE_PGM_RSRC2:TGID_Z_EN: 1
; COMPUTE_PGM_RSRC2:TIDIG_COMP_CNT: 1
	.section	.text._ZN9rocsolver6v33100L11lasr_kernelI19rocblas_complex_numIdEdPS3_iEEv13rocblas_side_14rocblas_pivot_15rocblas_direct_T2_S8_PT0_lSA_lT1_lS8_lS8_,"axG",@progbits,_ZN9rocsolver6v33100L11lasr_kernelI19rocblas_complex_numIdEdPS3_iEEv13rocblas_side_14rocblas_pivot_15rocblas_direct_T2_S8_PT0_lSA_lT1_lS8_lS8_,comdat
	.globl	_ZN9rocsolver6v33100L11lasr_kernelI19rocblas_complex_numIdEdPS3_iEEv13rocblas_side_14rocblas_pivot_15rocblas_direct_T2_S8_PT0_lSA_lT1_lS8_lS8_ ; -- Begin function _ZN9rocsolver6v33100L11lasr_kernelI19rocblas_complex_numIdEdPS3_iEEv13rocblas_side_14rocblas_pivot_15rocblas_direct_T2_S8_PT0_lSA_lT1_lS8_lS8_
	.p2align	8
	.type	_ZN9rocsolver6v33100L11lasr_kernelI19rocblas_complex_numIdEdPS3_iEEv13rocblas_side_14rocblas_pivot_15rocblas_direct_T2_S8_PT0_lSA_lT1_lS8_lS8_,@function
_ZN9rocsolver6v33100L11lasr_kernelI19rocblas_complex_numIdEdPS3_iEEv13rocblas_side_14rocblas_pivot_15rocblas_direct_T2_S8_PT0_lSA_lT1_lS8_lS8_: ; @_ZN9rocsolver6v33100L11lasr_kernelI19rocblas_complex_numIdEdPS3_iEEv13rocblas_side_14rocblas_pivot_15rocblas_direct_T2_S8_PT0_lSA_lT1_lS8_lS8_
; %bb.0:
	s_load_b32 s33, s[0:1], 0x58
	s_waitcnt lgkmcnt(0)
	s_cmp_ge_u32 s15, s33
	s_cbranch_scc1 .LBB20_98
; %bb.1:
	s_clause 0x5
	s_load_b32 s12, s[0:1], 0x48
	s_load_b128 s[20:23], s[0:1], 0x38
	s_load_b64 s[24:25], s[0:1], 0x68
	s_load_b128 s[16:19], s[0:1], 0x0
	s_load_b32 s52, s[0:1], 0x10
	s_load_b32 s28, s[0:1], 0x60
	s_mov_b32 s43, 0
	v_mov_b32_e32 v38, 0
	s_mov_b32 s45, s43
	s_waitcnt lgkmcnt(0)
	s_ashr_i32 s13, s12, 31
	s_lshl_b64 s[2:3], s[22:23], 4
	s_and_b32 s26, s25, 0xffff
	s_add_u32 s25, s20, s2
	s_addc_u32 s53, s21, s3
	s_cmpk_lg_i32 s16, 0x8d
	v_mad_u64_u32 v[4:5], null, s14, s26, v[0:1]
	s_cselect_b32 s27, -1, 0
	s_cmpk_lg_i32 s16, 0x8e
	s_mov_b32 s22, s19
	s_cselect_b32 s30, -1, 0
	s_cmpk_lg_i32 s17, 0x119
	s_cselect_b32 s29, -1, 0
	s_cmpk_lg_i32 s17, 0x11b
	v_mad_i64_i32 v[0:1], null, s12, v4, 0
	s_cselect_b32 s31, -1, 0
	s_cmpk_lg_i32 s17, 0x11a
	s_load_b64 s[16:17], s[0:1], 0x50
	s_cselect_b32 s34, -1, 0
	s_cmpk_lg_i32 s18, 0xab
	s_mul_i32 s26, s28, s26
	s_cselect_b32 s35, -1, 0
	s_or_b32 s36, s27, s29
	s_ashr_i32 s23, s19, 31
	s_or_b32 s4, s36, s35
	s_add_i32 s42, s19, -2
	s_xor_b32 s14, s4, -1
	s_cmpk_lg_i32 s18, 0xac
	s_load_b256 s[4:11], s[0:1], 0x18
	s_cselect_b32 s37, -1, 0
	v_cmp_le_i32_e32 vcc_lo, s19, v4
	s_or_b32 s0, s36, s37
	v_lshlrev_b64 v[0:1], 4, v[0:1]
	s_xor_b32 s18, s0, -1
	s_cmp_gt_i32 s19, 1
	v_ashrrev_i32_e32 v5, 31, v4
	s_cselect_b32 s54, -1, 0
	s_or_b32 s1, s27, s34
	s_or_b32 s27, s27, s31
	;; [unrolled: 1-line block ×9, first 2 shown]
	s_xor_b32 s55, s29, -1
	s_xor_b32 s56, s1, -1
	;; [unrolled: 1-line block ×5, first 2 shown]
	s_add_i32 s60, s52, -1
	s_xor_b32 s61, s28, -1
	s_add_i32 s44, s52, -2
	s_cmp_gt_i32 s52, 1
	s_mul_i32 s36, s12, s26
	s_cselect_b32 s62, -1, 0
	s_or_b32 s27, s30, s34
	s_or_b32 s30, s30, s31
	;; [unrolled: 1-line block ×4, first 2 shown]
	s_or_b32 s31, s37, vcc_lo
	s_xor_b32 s64, s27, -1
	s_or_b32 s27, s30, s35
	v_add_co_u32 v0, vcc_lo, s25, v0
	s_xor_b32 s65, s27, -1
	s_or_b32 s27, s30, s31
	s_mul_hi_i32 s37, s12, s26
	s_lshl_b64 s[38:39], s[42:43], 3
	s_xor_b32 s63, s34, -1
	s_xor_b32 s66, s27, -1
	s_add_i32 s30, s19, -1
	s_waitcnt lgkmcnt(0)
	s_lshl_b64 s[10:11], s[10:11], 3
	s_lshl_b64 s[6:7], s[6:7], 3
	v_add_co_ci_u32_e32 v1, vcc_lo, s53, v1, vcc_lo
	s_lshl_b64 s[34:35], s[16:17], 4
	s_ashr_i32 s27, s26, 31
	s_lshl_b64 s[36:37], s[36:37], 4
	s_add_u32 s67, s4, s38
	s_addc_u32 s68, s5, s39
	v_add_co_u32 v16, vcc_lo, v0, 24
	s_add_u32 s69, s8, s38
	s_addc_u32 s70, s9, s39
	s_lshl_b64 s[38:39], s[42:43], 4
	v_add_co_ci_u32_e32 v17, vcc_lo, 0, v1, vcc_lo
	v_add_co_u32 v18, vcc_lo, v0, s38
	v_add_co_ci_u32_e32 v19, vcc_lo, s39, v1, vcc_lo
	v_add_co_u32 v20, vcc_lo, v0, 16
	;; [unrolled: 2-line block ×3, first 2 shown]
	s_mov_b32 s31, s43
	v_add_co_ci_u32_e32 v23, vcc_lo, 0, v1, vcc_lo
	s_lshl_b64 s[38:39], s[30:31], 4
	v_lshlrev_b64 v[0:1], 4, v[4:5]
	v_add_co_u32 v24, vcc_lo, v22, s38
	s_mul_i32 s31, s13, s44
	s_mul_hi_u32 s38, s12, s44
	v_add_co_ci_u32_e32 v25, vcc_lo, s39, v23, vcc_lo
	s_add_i32 s41, s38, s31
	s_mul_i32 s40, s12, s44
	v_add_co_u32 v26, vcc_lo, v18, 8
	s_lshl_b64 s[46:47], s[40:41], 4
	s_add_i32 s71, s19, 1
	v_add_co_ci_u32_e32 v27, vcc_lo, 0, v19, vcc_lo
	s_lshl_b64 s[38:39], s[26:27], 4
	s_lshl_b64 s[40:41], s[12:13], 4
	v_add_co_u32 v2, vcc_lo, s25, v0
	s_add_u32 s27, s46, s2
	s_mul_i32 s28, s12, s60
	s_addc_u32 s31, s47, s3
	s_mul_i32 s13, s13, s60
	s_mul_hi_u32 s42, s12, s60
	v_add_co_ci_u32_e32 v3, vcc_lo, s53, v1, vcc_lo
	s_add_u32 s27, s20, s27
	s_addc_u32 s31, s21, s31
	s_add_i32 s47, s42, s13
	s_mov_b32 s46, s28
	v_add_co_u32 v28, vcc_lo, v2, 8
	s_lshl_b64 s[42:43], s[46:47], 4
	v_add_co_ci_u32_e32 v29, vcc_lo, 0, v3, vcc_lo
	s_add_u32 s13, s42, s2
	v_add_co_u32 v30, vcc_lo, s27, v0
	s_addc_u32 s27, s43, s3
	s_add_u32 s13, s20, s13
	v_add_co_ci_u32_e32 v31, vcc_lo, s31, v1, vcc_lo
	s_addc_u32 s27, s21, s27
	s_lshl_b64 s[42:43], s[44:45], 3
	v_add_co_u32 v2, vcc_lo, s13, v0
	s_add_u32 s13, s4, s42
	v_add_co_ci_u32_e32 v3, vcc_lo, s27, v1, vcc_lo
	s_addc_u32 s27, s5, s43
	s_add_u32 s31, s8, s42
	s_addc_u32 s72, s9, s43
	s_add_u32 s2, s2, s40
	;; [unrolled: 2-line block ×3, first 2 shown]
	s_addc_u32 s3, s21, s3
	v_add_co_u32 v0, vcc_lo, s2, v0
	v_add_co_ci_u32_e32 v1, vcc_lo, s3, v1, vcc_lo
	v_add_co_u32 v32, vcc_lo, v2, 8
	v_add_co_ci_u32_e32 v33, vcc_lo, 0, v3, vcc_lo
	s_delay_alu instid0(VALU_DEP_4) | instskip(NEXT) | instid1(VALU_DEP_4)
	v_add_co_u32 v34, vcc_lo, v0, 8
	v_add_co_ci_u32_e32 v35, vcc_lo, 0, v1, vcc_lo
	v_add_co_u32 v36, vcc_lo, v30, 8
	v_cmp_gt_i32_e64 s0, s52, v4
	v_cmp_gt_i32_e64 s1, s19, v4
	v_add_co_ci_u32_e32 v37, vcc_lo, 0, v31, vcc_lo
	s_add_i32 s73, s52, 1
	s_sub_u32 s74, 0, s40
	s_mul_hi_i32 s29, s12, s60
	s_subb_u32 s75, 0, s41
	s_branch .LBB20_4
.LBB20_2:                               ;   in Loop: Header=BB20_4 Depth=1
	s_or_b32 exec_lo, exec_lo, s42
.LBB20_3:                               ;   in Loop: Header=BB20_4 Depth=1
	s_add_i32 s15, s15, s24
	s_delay_alu instid0(SALU_CYCLE_1)
	s_cmp_ge_u32 s15, s33
	s_cbranch_scc1 .LBB20_98
.LBB20_4:                               ; =>This Loop Header: Depth=1
                                        ;     Child Loop BB20_8 Depth 2
                                        ;       Child Loop BB20_9 Depth 3
                                        ;     Child Loop BB20_16 Depth 2
                                        ;       Child Loop BB20_17 Depth 3
	;; [unrolled: 2-line block ×12, first 2 shown]
	s_mul_i32 s2, s7, s15
	s_mul_hi_u32 s3, s6, s15
	s_mul_hi_u32 s76, s34, s15
	s_add_i32 s50, s3, s2
	s_mul_i32 s2, s11, s15
	s_mul_hi_u32 s3, s10, s15
	s_mul_i32 s80, s6, s15
	s_add_i32 s51, s3, s2
	s_mul_i32 s2, s35, s15
	s_mul_i32 s81, s10, s15
	s_add_i32 s76, s76, s2
	s_add_u32 s20, s4, s80
	s_addc_u32 s21, s5, s50
	s_mul_i32 s2, s15, s17
	s_mul_hi_u32 s3, s15, s16
	s_add_u32 s42, s8, s81
	s_addc_u32 s43, s9, s51
	s_add_i32 s3, s3, s2
	s_mul_i32 s2, s15, s16
	s_mul_i32 s79, s34, s15
	s_lshl_b64 s[2:3], s[2:3], 4
	s_delay_alu instid0(SALU_CYCLE_1)
	s_add_u32 s77, s25, s2
	s_addc_u32 s78, s53, s3
	s_and_not1_b32 vcc_lo, exec_lo, s14
	s_mov_b32 s2, -1
	s_cbranch_vccnz .LBB20_11
; %bb.5:                                ;   in Loop: Header=BB20_4 Depth=1
	s_and_saveexec_b32 s46, s0
	s_cbranch_execz .LBB20_10
; %bb.6:                                ;   in Loop: Header=BB20_4 Depth=1
	v_add_co_u32 v5, vcc_lo, v16, s79
	v_add_co_ci_u32_e32 v6, vcc_lo, s76, v17, vcc_lo
	s_lshl_b64 s[2:3], s[22:23], 4
	v_mov_b32_e32 v11, v4
	s_add_u32 s47, s77, s2
	s_addc_u32 s48, s78, s3
	s_mov_b32 s49, 0
	s_branch .LBB20_8
.LBB20_7:                               ;   in Loop: Header=BB20_8 Depth=2
	v_add_nc_u32_e32 v11, s26, v11
	v_add_co_u32 v7, vcc_lo, s47, v7
	v_add_co_ci_u32_e32 v8, vcc_lo, s48, v8, vcc_lo
	s_delay_alu instid0(VALU_DEP_3) | instskip(SKIP_1) | instid1(VALU_DEP_1)
	v_cmp_le_i32_e32 vcc_lo, s52, v11
	v_add_co_u32 v5, s2, v5, s36
	v_add_co_ci_u32_e64 v6, s2, s37, v6, s2
	s_or_b32 s49, vcc_lo, s49
	s_waitcnt vmcnt(0)
	global_store_b128 v[7:8], v[0:3], off offset:-16
	s_and_not1_b32 exec_lo, exec_lo, s49
	s_cbranch_execz .LBB20_10
.LBB20_8:                               ;   Parent Loop BB20_4 Depth=1
                                        ; =>  This Loop Header: Depth=2
                                        ;       Child Loop BB20_9 Depth 3
	v_mad_i64_i32 v[0:1], null, v11, s12, 0
	v_dual_mov_b32 v10, v6 :: v_dual_mov_b32 v9, v5
	s_mov_b64 s[2:3], s[20:21]
	s_mov_b64 s[44:45], s[42:43]
	s_mov_b32 s82, s30
	s_delay_alu instid0(VALU_DEP_2) | instskip(NEXT) | instid1(VALU_DEP_1)
	v_lshlrev_b64 v[7:8], 4, v[0:1]
	v_add_co_u32 v0, vcc_lo, s77, v7
	s_delay_alu instid0(VALU_DEP_2)
	v_add_co_ci_u32_e32 v1, vcc_lo, s78, v8, vcc_lo
	s_and_not1_b32 vcc_lo, exec_lo, s54
	global_load_b128 v[0:3], v[0:1], off
	s_cbranch_vccnz .LBB20_7
	.p2align	6
.LBB20_9:                               ;   Parent Loop BB20_4 Depth=1
                                        ;     Parent Loop BB20_8 Depth=2
                                        ; =>    This Inner Loop Header: Depth=3
	global_load_b64 v[39:40], v38, s[44:45]
	global_load_b128 v[12:15], v[9:10], off offset:-8
	global_load_b64 v[43:44], v38, s[2:3]
	s_add_i32 s82, s82, -1
	s_add_u32 s44, s44, 8
	s_addc_u32 s45, s45, 0
	s_add_u32 s2, s2, 8
	s_addc_u32 s3, s3, 0
	s_cmp_eq_u32 s82, 0
	s_waitcnt vmcnt(2)
	v_mul_f64 v[47:48], v[0:1], v[39:40]
	s_waitcnt vmcnt(1)
	v_mul_f64 v[41:42], v[39:40], v[12:13]
	v_mul_f64 v[45:46], v[39:40], v[14:15]
	;; [unrolled: 1-line block ×3, first 2 shown]
	s_waitcnt vmcnt(0)
	s_delay_alu instid0(VALU_DEP_3) | instskip(NEXT) | instid1(VALU_DEP_3)
	v_fma_f64 v[39:40], v[0:1], v[43:44], v[41:42]
	v_fma_f64 v[41:42], v[2:3], v[43:44], v[45:46]
	v_fma_f64 v[0:1], v[43:44], v[12:13], -v[47:48]
	s_delay_alu instid0(VALU_DEP_4)
	v_fma_f64 v[2:3], v[43:44], v[14:15], -v[49:50]
	global_store_b128 v[9:10], v[39:42], off offset:-24
	v_add_co_u32 v9, vcc_lo, v9, 16
	v_add_co_ci_u32_e32 v10, vcc_lo, 0, v10, vcc_lo
	s_cbranch_scc0 .LBB20_9
	s_branch .LBB20_7
.LBB20_10:                              ;   in Loop: Header=BB20_4 Depth=1
	s_or_b32 exec_lo, exec_lo, s46
	s_mov_b32 s2, 0
.LBB20_11:                              ;   in Loop: Header=BB20_4 Depth=1
	s_delay_alu instid0(SALU_CYCLE_1)
	s_and_not1_b32 vcc_lo, exec_lo, s2
	s_cbranch_vccnz .LBB20_3
; %bb.12:                               ;   in Loop: Header=BB20_4 Depth=1
	s_add_u32 s44, s67, s80
	s_addc_u32 s45, s68, s50
	s_add_u32 s46, s69, s81
	s_addc_u32 s47, s70, s51
	s_and_not1_b32 vcc_lo, exec_lo, s18
	s_mov_b32 s2, -1
	s_cbranch_vccnz .LBB20_19
; %bb.13:                               ;   in Loop: Header=BB20_4 Depth=1
	s_and_saveexec_b32 s82, s0
	s_cbranch_execz .LBB20_18
; %bb.14:                               ;   in Loop: Header=BB20_4 Depth=1
	v_add_co_u32 v5, vcc_lo, v18, s79
	v_add_co_ci_u32_e32 v6, vcc_lo, s76, v19, vcc_lo
	s_lshl_b64 s[2:3], s[22:23], 4
	v_mov_b32_e32 v11, v4
	s_add_u32 s83, s77, s2
	s_addc_u32 s84, s78, s3
	s_mov_b32 s85, 0
	s_branch .LBB20_16
.LBB20_15:                              ;   in Loop: Header=BB20_16 Depth=2
	v_add_nc_u32_e32 v11, s26, v11
	v_add_co_u32 v7, vcc_lo, s77, v7
	v_add_co_ci_u32_e32 v8, vcc_lo, s78, v8, vcc_lo
	s_delay_alu instid0(VALU_DEP_3) | instskip(SKIP_1) | instid1(VALU_DEP_1)
	v_cmp_le_i32_e32 vcc_lo, s52, v11
	v_add_co_u32 v5, s2, v5, s36
	v_add_co_ci_u32_e64 v6, s2, s37, v6, s2
	s_or_b32 s85, vcc_lo, s85
	s_waitcnt vmcnt(0)
	global_store_b128 v[7:8], v[0:3], off
	s_and_not1_b32 exec_lo, exec_lo, s85
	s_cbranch_execz .LBB20_18
.LBB20_16:                              ;   Parent Loop BB20_4 Depth=1
                                        ; =>  This Loop Header: Depth=2
                                        ;       Child Loop BB20_17 Depth 3
	v_mad_i64_i32 v[0:1], null, v11, s12, 0
	v_dual_mov_b32 v10, v6 :: v_dual_mov_b32 v9, v5
	s_mov_b64 s[2:3], s[46:47]
	s_mov_b64 s[48:49], s[44:45]
	s_mov_b32 s86, s30
	s_delay_alu instid0(VALU_DEP_2) | instskip(NEXT) | instid1(VALU_DEP_1)
	v_lshlrev_b64 v[7:8], 4, v[0:1]
	v_add_co_u32 v0, vcc_lo, s83, v7
	s_delay_alu instid0(VALU_DEP_2)
	v_add_co_ci_u32_e32 v1, vcc_lo, s84, v8, vcc_lo
	s_and_not1_b32 vcc_lo, exec_lo, s54
	global_load_b128 v[0:3], v[0:1], off offset:-16
	s_cbranch_vccnz .LBB20_15
	.p2align	6
.LBB20_17:                              ;   Parent Loop BB20_4 Depth=1
                                        ;     Parent Loop BB20_16 Depth=2
                                        ; =>    This Inner Loop Header: Depth=3
	global_load_b64 v[39:40], v38, s[2:3]
	global_load_b128 v[12:15], v[9:10], off
	global_load_b64 v[41:42], v38, s[48:49]
	s_add_i32 s86, s86, -1
	s_add_u32 s48, s48, -8
	s_addc_u32 s49, s49, -1
	s_add_u32 s2, s2, -8
	s_addc_u32 s3, s3, -1
	s_cmp_eq_u32 s86, 0
	s_waitcnt vmcnt(1)
	v_mul_f64 v[43:44], v[39:40], v[12:13]
	v_mul_f64 v[45:46], v[39:40], v[14:15]
	s_waitcnt vmcnt(0)
	v_mul_f64 v[47:48], v[41:42], v[12:13]
	v_mul_f64 v[49:50], v[41:42], v[14:15]
	s_delay_alu instid0(VALU_DEP_4) | instskip(NEXT) | instid1(VALU_DEP_4)
	v_fma_f64 v[12:13], v[0:1], v[41:42], -v[43:44]
	v_fma_f64 v[14:15], v[2:3], v[41:42], -v[45:46]
	s_delay_alu instid0(VALU_DEP_4) | instskip(NEXT) | instid1(VALU_DEP_4)
	v_fma_f64 v[0:1], v[0:1], v[39:40], v[47:48]
	v_fma_f64 v[2:3], v[2:3], v[39:40], v[49:50]
	global_store_b128 v[9:10], v[12:15], off offset:16
	v_add_co_u32 v9, vcc_lo, v9, -16
	v_add_co_ci_u32_e32 v10, vcc_lo, -1, v10, vcc_lo
	s_cbranch_scc0 .LBB20_17
	s_branch .LBB20_15
.LBB20_18:                              ;   in Loop: Header=BB20_4 Depth=1
	s_or_b32 exec_lo, exec_lo, s82
	s_mov_b32 s2, 0
.LBB20_19:                              ;   in Loop: Header=BB20_4 Depth=1
	s_delay_alu instid0(SALU_CYCLE_1)
	s_and_not1_b32 vcc_lo, exec_lo, s2
	s_cbranch_vccnz .LBB20_3
; %bb.20:                               ;   in Loop: Header=BB20_4 Depth=1
	s_and_not1_b32 vcc_lo, exec_lo, s55
	s_mov_b32 s2, -1
	s_cbranch_vccnz .LBB20_27
; %bb.21:                               ;   in Loop: Header=BB20_4 Depth=1
	s_and_saveexec_b32 s82, s0
	s_cbranch_execz .LBB20_26
; %bb.22:                               ;   in Loop: Header=BB20_4 Depth=1
	v_add_co_u32 v5, vcc_lo, v20, s79
	v_add_co_ci_u32_e32 v6, vcc_lo, s76, v21, vcc_lo
	v_mov_b32_e32 v11, v4
	s_mov_b32 s83, 0
	s_branch .LBB20_24
.LBB20_23:                              ;   in Loop: Header=BB20_24 Depth=2
	v_add_nc_u32_e32 v11, s26, v11
	v_add_co_u32 v5, s2, v5, s36
	s_delay_alu instid0(VALU_DEP_1) | instskip(NEXT) | instid1(VALU_DEP_3)
	v_add_co_ci_u32_e64 v6, s2, s37, v6, s2
	v_cmp_le_i32_e32 vcc_lo, s52, v11
	s_waitcnt vmcnt(0)
	global_store_b128 v[7:8], v[0:3], off
	s_or_b32 s83, vcc_lo, s83
	s_delay_alu instid0(SALU_CYCLE_1)
	s_and_not1_b32 exec_lo, exec_lo, s83
	s_cbranch_execz .LBB20_26
.LBB20_24:                              ;   Parent Loop BB20_4 Depth=1
                                        ; =>  This Loop Header: Depth=2
                                        ;       Child Loop BB20_25 Depth 3
	s_delay_alu instid0(VALU_DEP_1) | instskip(SKIP_4) | instid1(VALU_DEP_2)
	v_mad_i64_i32 v[0:1], null, v11, s12, 0
	v_dual_mov_b32 v10, v6 :: v_dual_mov_b32 v9, v5
	s_mov_b32 s84, s30
	s_mov_b64 s[2:3], s[20:21]
	s_mov_b64 s[48:49], s[42:43]
	v_lshlrev_b64 v[0:1], 4, v[0:1]
	s_delay_alu instid0(VALU_DEP_1) | instskip(NEXT) | instid1(VALU_DEP_2)
	v_add_co_u32 v7, vcc_lo, s77, v0
	v_add_co_ci_u32_e32 v8, vcc_lo, s78, v1, vcc_lo
	s_and_not1_b32 vcc_lo, exec_lo, s54
	global_load_b128 v[0:3], v[7:8], off
	s_cbranch_vccnz .LBB20_23
	.p2align	6
.LBB20_25:                              ;   Parent Loop BB20_4 Depth=1
                                        ;     Parent Loop BB20_24 Depth=2
                                        ; =>    This Inner Loop Header: Depth=3
	s_clause 0x1
	global_load_b64 v[39:40], v38, s[48:49]
	global_load_b64 v[41:42], v38, s[2:3]
	global_load_b128 v[12:15], v[9:10], off
	s_add_u32 s48, s48, 8
	s_addc_u32 s49, s49, 0
	s_add_u32 s2, s2, 8
	s_addc_u32 s3, s3, 0
	s_add_i32 s84, s84, -1
	s_delay_alu instid0(SALU_CYCLE_1)
	s_cmp_eq_u32 s84, 0
	s_waitcnt vmcnt(2)
	v_mul_f64 v[43:44], v[0:1], v[39:40]
	v_mul_f64 v[45:46], v[2:3], v[39:40]
	s_waitcnt vmcnt(0)
	v_mul_f64 v[47:48], v[39:40], v[12:13]
	v_mul_f64 v[39:40], v[39:40], v[14:15]
	s_delay_alu instid0(VALU_DEP_4) | instskip(NEXT) | instid1(VALU_DEP_4)
	v_fma_f64 v[12:13], v[41:42], v[12:13], -v[43:44]
	v_fma_f64 v[14:15], v[41:42], v[14:15], -v[45:46]
	s_delay_alu instid0(VALU_DEP_4) | instskip(NEXT) | instid1(VALU_DEP_4)
	v_fma_f64 v[0:1], v[0:1], v[41:42], v[47:48]
	v_fma_f64 v[2:3], v[2:3], v[41:42], v[39:40]
	global_store_b128 v[9:10], v[12:15], off
	v_add_co_u32 v9, vcc_lo, v9, 16
	v_add_co_ci_u32_e32 v10, vcc_lo, 0, v10, vcc_lo
	s_cbranch_scc0 .LBB20_25
	s_branch .LBB20_23
.LBB20_26:                              ;   in Loop: Header=BB20_4 Depth=1
	s_or_b32 exec_lo, exec_lo, s82
	s_mov_b32 s2, 0
.LBB20_27:                              ;   in Loop: Header=BB20_4 Depth=1
	s_delay_alu instid0(SALU_CYCLE_1)
	s_and_not1_b32 vcc_lo, exec_lo, s2
	s_cbranch_vccnz .LBB20_3
; %bb.28:                               ;   in Loop: Header=BB20_4 Depth=1
	s_and_not1_b32 vcc_lo, exec_lo, s56
	s_mov_b32 s2, -1
	s_cbranch_vccnz .LBB20_35
; %bb.29:                               ;   in Loop: Header=BB20_4 Depth=1
	s_and_saveexec_b32 s82, s0
	s_cbranch_execz .LBB20_34
; %bb.30:                               ;   in Loop: Header=BB20_4 Depth=1
	v_add_co_u32 v5, vcc_lo, v24, s79
	v_add_co_ci_u32_e32 v6, vcc_lo, s76, v25, vcc_lo
	v_mov_b32_e32 v11, v4
	s_mov_b32 s83, 0
	s_branch .LBB20_32
.LBB20_31:                              ;   in Loop: Header=BB20_32 Depth=2
	v_add_nc_u32_e32 v11, s26, v11
	v_add_co_u32 v5, s2, v5, s36
	s_delay_alu instid0(VALU_DEP_1) | instskip(NEXT) | instid1(VALU_DEP_3)
	v_add_co_ci_u32_e64 v6, s2, s37, v6, s2
	v_cmp_le_i32_e32 vcc_lo, s52, v11
	s_waitcnt vmcnt(0)
	global_store_b128 v[7:8], v[0:3], off
	s_or_b32 s83, vcc_lo, s83
	s_delay_alu instid0(SALU_CYCLE_1)
	s_and_not1_b32 exec_lo, exec_lo, s83
	s_cbranch_execz .LBB20_34
.LBB20_32:                              ;   Parent Loop BB20_4 Depth=1
                                        ; =>  This Loop Header: Depth=2
                                        ;       Child Loop BB20_33 Depth 3
	s_delay_alu instid0(VALU_DEP_1) | instskip(SKIP_4) | instid1(VALU_DEP_2)
	v_mad_i64_i32 v[0:1], null, v11, s12, 0
	v_dual_mov_b32 v10, v6 :: v_dual_mov_b32 v9, v5
	s_mov_b64 s[2:3], s[46:47]
	s_mov_b64 s[48:49], s[44:45]
	s_mov_b32 s84, s71
	v_lshlrev_b64 v[0:1], 4, v[0:1]
	s_delay_alu instid0(VALU_DEP_1) | instskip(NEXT) | instid1(VALU_DEP_2)
	v_add_co_u32 v7, vcc_lo, s77, v0
	v_add_co_ci_u32_e32 v8, vcc_lo, s78, v1, vcc_lo
	s_and_not1_b32 vcc_lo, exec_lo, s54
	global_load_b128 v[0:3], v[7:8], off
	s_cbranch_vccnz .LBB20_31
	.p2align	6
.LBB20_33:                              ;   Parent Loop BB20_4 Depth=1
                                        ;     Parent Loop BB20_32 Depth=2
                                        ; =>    This Inner Loop Header: Depth=3
	s_clause 0x1
	global_load_b64 v[39:40], v38, s[2:3]
	global_load_b64 v[41:42], v38, s[48:49]
	global_load_b128 v[12:15], v[9:10], off offset:-8
	s_add_i32 s84, s84, -1
	s_add_u32 s48, s48, -8
	s_addc_u32 s49, s49, -1
	s_add_u32 s2, s2, -8
	s_addc_u32 s3, s3, -1
	s_cmp_lt_u32 s84, 3
	s_waitcnt vmcnt(2)
	v_mul_f64 v[43:44], v[0:1], v[39:40]
	v_mul_f64 v[45:46], v[2:3], v[39:40]
	s_waitcnt vmcnt(0)
	v_mul_f64 v[47:48], v[39:40], v[12:13]
	v_mul_f64 v[39:40], v[39:40], v[14:15]
	s_delay_alu instid0(VALU_DEP_4) | instskip(NEXT) | instid1(VALU_DEP_4)
	v_fma_f64 v[12:13], v[41:42], v[12:13], -v[43:44]
	v_fma_f64 v[14:15], v[41:42], v[14:15], -v[45:46]
	s_delay_alu instid0(VALU_DEP_4) | instskip(NEXT) | instid1(VALU_DEP_4)
	v_fma_f64 v[0:1], v[0:1], v[41:42], v[47:48]
	v_fma_f64 v[2:3], v[2:3], v[41:42], v[39:40]
	global_store_b128 v[9:10], v[12:15], off offset:-8
	v_add_co_u32 v9, vcc_lo, v9, -16
	v_add_co_ci_u32_e32 v10, vcc_lo, -1, v10, vcc_lo
	s_cbranch_scc0 .LBB20_33
	s_branch .LBB20_31
.LBB20_34:                              ;   in Loop: Header=BB20_4 Depth=1
	s_or_b32 exec_lo, exec_lo, s82
	s_mov_b32 s2, 0
.LBB20_35:                              ;   in Loop: Header=BB20_4 Depth=1
	s_delay_alu instid0(SALU_CYCLE_1)
	s_and_not1_b32 vcc_lo, exec_lo, s2
	s_cbranch_vccnz .LBB20_3
; %bb.36:                               ;   in Loop: Header=BB20_4 Depth=1
	s_and_not1_b32 vcc_lo, exec_lo, s57
	s_mov_b32 s2, -1
	s_cbranch_vccnz .LBB20_43
; %bb.37:                               ;   in Loop: Header=BB20_4 Depth=1
	s_and_saveexec_b32 s82, s0
	s_cbranch_execz .LBB20_42
; %bb.38:                               ;   in Loop: Header=BB20_4 Depth=1
	v_add_co_u32 v5, vcc_lo, v22, s79
	v_add_co_ci_u32_e32 v6, vcc_lo, s76, v23, vcc_lo
	s_lshl_b64 s[2:3], s[22:23], 4
	v_mov_b32_e32 v11, v4
	s_add_u32 s83, s77, s2
	s_addc_u32 s84, s78, s3
	s_mov_b32 s85, 0
	s_branch .LBB20_40
.LBB20_39:                              ;   in Loop: Header=BB20_40 Depth=2
	v_add_nc_u32_e32 v11, s26, v11
	v_add_co_u32 v5, s2, v5, s36
	s_delay_alu instid0(VALU_DEP_1) | instskip(NEXT) | instid1(VALU_DEP_3)
	v_add_co_ci_u32_e64 v6, s2, s37, v6, s2
	v_cmp_le_i32_e32 vcc_lo, s52, v11
	s_waitcnt vmcnt(0)
	global_store_b128 v[7:8], v[0:3], off offset:-16
	s_or_b32 s85, vcc_lo, s85
	s_delay_alu instid0(SALU_CYCLE_1)
	s_and_not1_b32 exec_lo, exec_lo, s85
	s_cbranch_execz .LBB20_42
.LBB20_40:                              ;   Parent Loop BB20_4 Depth=1
                                        ; =>  This Loop Header: Depth=2
                                        ;       Child Loop BB20_41 Depth 3
	v_mad_i64_i32 v[0:1], null, v11, s12, 0
	v_dual_mov_b32 v10, v6 :: v_dual_mov_b32 v9, v5
	s_mov_b64 s[2:3], s[42:43]
	s_mov_b64 s[48:49], s[20:21]
	s_mov_b32 s86, s30
	s_delay_alu instid0(VALU_DEP_2) | instskip(NEXT) | instid1(VALU_DEP_1)
	v_lshlrev_b64 v[0:1], 4, v[0:1]
	v_add_co_u32 v7, vcc_lo, s83, v0
	s_delay_alu instid0(VALU_DEP_2)
	v_add_co_ci_u32_e32 v8, vcc_lo, s84, v1, vcc_lo
	s_and_not1_b32 vcc_lo, exec_lo, s54
	global_load_b128 v[0:3], v[7:8], off offset:-16
	s_cbranch_vccnz .LBB20_39
	.p2align	6
.LBB20_41:                              ;   Parent Loop BB20_4 Depth=1
                                        ;     Parent Loop BB20_40 Depth=2
                                        ; =>    This Inner Loop Header: Depth=3
	global_load_b128 v[12:15], v[9:10], off offset:-8
	s_clause 0x1
	global_load_b64 v[39:40], v38, s[48:49]
	global_load_b64 v[41:42], v38, s[2:3]
	s_add_i32 s86, s86, -1
	s_add_u32 s48, s48, 8
	s_addc_u32 s49, s49, 0
	s_add_u32 s2, s2, 8
	s_addc_u32 s3, s3, 0
	s_cmp_eq_u32 s86, 0
	s_waitcnt vmcnt(1)
	v_mul_f64 v[43:44], v[39:40], v[12:13]
	v_mul_f64 v[45:46], v[39:40], v[14:15]
	s_waitcnt vmcnt(0)
	v_mul_f64 v[47:48], v[41:42], v[12:13]
	v_mul_f64 v[49:50], v[41:42], v[14:15]
	s_delay_alu instid0(VALU_DEP_4) | instskip(NEXT) | instid1(VALU_DEP_4)
	v_fma_f64 v[12:13], v[0:1], v[41:42], v[43:44]
	v_fma_f64 v[14:15], v[2:3], v[41:42], v[45:46]
	s_delay_alu instid0(VALU_DEP_4) | instskip(NEXT) | instid1(VALU_DEP_4)
	v_fma_f64 v[0:1], v[0:1], v[39:40], -v[47:48]
	v_fma_f64 v[2:3], v[2:3], v[39:40], -v[49:50]
	global_store_b128 v[9:10], v[12:15], off offset:-8
	v_add_co_u32 v9, vcc_lo, v9, 16
	v_add_co_ci_u32_e32 v10, vcc_lo, 0, v10, vcc_lo
	s_cbranch_scc0 .LBB20_41
	s_branch .LBB20_39
.LBB20_42:                              ;   in Loop: Header=BB20_4 Depth=1
	s_or_b32 exec_lo, exec_lo, s82
	s_mov_b32 s2, 0
.LBB20_43:                              ;   in Loop: Header=BB20_4 Depth=1
	s_delay_alu instid0(SALU_CYCLE_1)
	s_and_not1_b32 vcc_lo, exec_lo, s2
	s_cbranch_vccnz .LBB20_3
; %bb.44:                               ;   in Loop: Header=BB20_4 Depth=1
	s_and_not1_b32 vcc_lo, exec_lo, s58
	s_mov_b32 s2, -1
	s_cbranch_vccnz .LBB20_51
; %bb.45:                               ;   in Loop: Header=BB20_4 Depth=1
	s_and_saveexec_b32 s82, s0
	s_cbranch_execz .LBB20_50
; %bb.46:                               ;   in Loop: Header=BB20_4 Depth=1
	v_add_co_u32 v5, vcc_lo, v26, s79
	v_add_co_ci_u32_e32 v6, vcc_lo, s76, v27, vcc_lo
	s_lshl_b64 s[2:3], s[22:23], 4
	v_mov_b32_e32 v11, v4
	s_add_u32 s83, s77, s2
	s_addc_u32 s84, s78, s3
	s_mov_b32 s85, 0
	s_branch .LBB20_48
.LBB20_47:                              ;   in Loop: Header=BB20_48 Depth=2
	v_add_nc_u32_e32 v11, s26, v11
	v_add_co_u32 v5, s2, v5, s36
	s_delay_alu instid0(VALU_DEP_1) | instskip(NEXT) | instid1(VALU_DEP_3)
	v_add_co_ci_u32_e64 v6, s2, s37, v6, s2
	v_cmp_le_i32_e32 vcc_lo, s52, v11
	s_waitcnt vmcnt(0)
	global_store_b128 v[7:8], v[0:3], off offset:-16
	s_or_b32 s85, vcc_lo, s85
	s_delay_alu instid0(SALU_CYCLE_1)
	s_and_not1_b32 exec_lo, exec_lo, s85
	s_cbranch_execz .LBB20_50
.LBB20_48:                              ;   Parent Loop BB20_4 Depth=1
                                        ; =>  This Loop Header: Depth=2
                                        ;       Child Loop BB20_49 Depth 3
	v_mad_i64_i32 v[0:1], null, v11, s12, 0
	v_dual_mov_b32 v10, v6 :: v_dual_mov_b32 v9, v5
	s_mov_b64 s[2:3], s[46:47]
	s_mov_b64 s[48:49], s[44:45]
	s_mov_b32 s86, s30
	s_delay_alu instid0(VALU_DEP_2) | instskip(NEXT) | instid1(VALU_DEP_1)
	v_lshlrev_b64 v[0:1], 4, v[0:1]
	v_add_co_u32 v7, vcc_lo, s83, v0
	s_delay_alu instid0(VALU_DEP_2)
	v_add_co_ci_u32_e32 v8, vcc_lo, s84, v1, vcc_lo
	s_and_not1_b32 vcc_lo, exec_lo, s54
	global_load_b128 v[0:3], v[7:8], off offset:-16
	s_cbranch_vccnz .LBB20_47
	.p2align	6
.LBB20_49:                              ;   Parent Loop BB20_4 Depth=1
                                        ;     Parent Loop BB20_48 Depth=2
                                        ; =>    This Inner Loop Header: Depth=3
	global_load_b128 v[12:15], v[9:10], off offset:-8
	s_clause 0x1
	global_load_b64 v[39:40], v38, s[48:49]
	global_load_b64 v[41:42], v38, s[2:3]
	s_add_i32 s86, s86, -1
	s_add_u32 s48, s48, -8
	s_addc_u32 s49, s49, -1
	s_add_u32 s2, s2, -8
	s_addc_u32 s3, s3, -1
	s_cmp_eq_u32 s86, 0
	s_waitcnt vmcnt(1)
	v_mul_f64 v[43:44], v[39:40], v[12:13]
	v_mul_f64 v[45:46], v[39:40], v[14:15]
	s_waitcnt vmcnt(0)
	v_mul_f64 v[47:48], v[41:42], v[12:13]
	v_mul_f64 v[49:50], v[41:42], v[14:15]
	s_delay_alu instid0(VALU_DEP_4) | instskip(NEXT) | instid1(VALU_DEP_4)
	v_fma_f64 v[12:13], v[0:1], v[41:42], v[43:44]
	v_fma_f64 v[14:15], v[2:3], v[41:42], v[45:46]
	s_delay_alu instid0(VALU_DEP_4) | instskip(NEXT) | instid1(VALU_DEP_4)
	v_fma_f64 v[0:1], v[0:1], v[39:40], -v[47:48]
	v_fma_f64 v[2:3], v[2:3], v[39:40], -v[49:50]
	global_store_b128 v[9:10], v[12:15], off offset:-8
	v_add_co_u32 v9, vcc_lo, v9, -16
	v_add_co_ci_u32_e32 v10, vcc_lo, -1, v10, vcc_lo
	s_cbranch_scc0 .LBB20_49
	s_branch .LBB20_47
.LBB20_50:                              ;   in Loop: Header=BB20_4 Depth=1
	s_or_b32 exec_lo, exec_lo, s82
	s_mov_b32 s2, 0
.LBB20_51:                              ;   in Loop: Header=BB20_4 Depth=1
	s_delay_alu instid0(SALU_CYCLE_1)
	s_and_not1_b32 vcc_lo, exec_lo, s2
	s_cbranch_vccnz .LBB20_3
; %bb.52:                               ;   in Loop: Header=BB20_4 Depth=1
	v_add_co_u32 v5, vcc_lo, v28, s79
	v_add_co_ci_u32_e32 v6, vcc_lo, s76, v29, vcc_lo
	s_and_not1_b32 vcc_lo, exec_lo, s59
	s_mov_b32 s2, -1
	s_cbranch_vccnz .LBB20_59
; %bb.53:                               ;   in Loop: Header=BB20_4 Depth=1
	s_and_saveexec_b32 s46, s1
	s_cbranch_execz .LBB20_58
; %bb.54:                               ;   in Loop: Header=BB20_4 Depth=1
	s_lshl_b64 s[2:3], s[28:29], 4
	v_dual_mov_b32 v8, v6 :: v_dual_mov_b32 v7, v5
	v_mov_b32_e32 v9, v4
	s_add_u32 s47, s77, s2
	s_addc_u32 s48, s78, s3
	s_mov_b32 s49, 0
	s_branch .LBB20_56
.LBB20_55:                              ;   in Loop: Header=BB20_56 Depth=2
	v_add_nc_u32_e32 v9, s26, v9
	v_add_co_u32 v10, vcc_lo, s47, v10
	v_add_co_ci_u32_e32 v11, vcc_lo, s48, v11, vcc_lo
	s_delay_alu instid0(VALU_DEP_3) | instskip(SKIP_1) | instid1(VALU_DEP_1)
	v_cmp_le_i32_e32 vcc_lo, s19, v9
	v_add_co_u32 v7, s2, v7, s38
	v_add_co_ci_u32_e64 v8, s2, s39, v8, s2
	s_or_b32 s49, vcc_lo, s49
	s_waitcnt vmcnt(0)
	global_store_b128 v[10:11], v[0:3], off
	s_and_not1_b32 exec_lo, exec_lo, s49
	s_cbranch_execz .LBB20_58
.LBB20_56:                              ;   Parent Loop BB20_4 Depth=1
                                        ; =>  This Loop Header: Depth=2
                                        ;       Child Loop BB20_57 Depth 3
	v_ashrrev_i32_e32 v10, 31, v9
	v_dual_mov_b32 v13, v8 :: v_dual_mov_b32 v12, v7
	s_mov_b64 s[2:3], s[42:43]
	s_mov_b64 s[44:45], s[20:21]
	s_delay_alu instid0(VALU_DEP_2) | instskip(SKIP_1) | instid1(VALU_DEP_1)
	v_lshlrev_b64 v[10:11], 4, v[9:10]
	s_mov_b32 s82, s60
	v_add_co_u32 v0, vcc_lo, s77, v10
	s_delay_alu instid0(VALU_DEP_2)
	v_add_co_ci_u32_e32 v1, vcc_lo, s78, v11, vcc_lo
	s_and_not1_b32 vcc_lo, exec_lo, s62
	global_load_b128 v[0:3], v[0:1], off
	s_cbranch_vccnz .LBB20_55
	.p2align	6
.LBB20_57:                              ;   Parent Loop BB20_4 Depth=1
                                        ;     Parent Loop BB20_56 Depth=2
                                        ; =>    This Inner Loop Header: Depth=3
	s_delay_alu instid0(VALU_DEP_1) | instskip(NEXT) | instid1(VALU_DEP_2)
	v_add_co_u32 v14, vcc_lo, v12, s40
	v_add_co_ci_u32_e32 v15, vcc_lo, s41, v13, vcc_lo
	s_add_i32 s82, s82, -1
	global_load_b64 v[43:44], v38, s[2:3]
	global_load_b128 v[39:42], v[14:15], off offset:-8
	global_load_b64 v[47:48], v38, s[44:45]
	s_add_u32 s44, s44, 8
	s_addc_u32 s45, s45, 0
	s_add_u32 s2, s2, 8
	s_addc_u32 s3, s3, 0
	s_cmp_eq_u32 s82, 0
	s_waitcnt vmcnt(2)
	v_mul_f64 v[51:52], v[0:1], v[43:44]
	s_waitcnt vmcnt(1)
	v_mul_f64 v[45:46], v[43:44], v[39:40]
	v_mul_f64 v[49:50], v[43:44], v[41:42]
	;; [unrolled: 1-line block ×3, first 2 shown]
	s_waitcnt vmcnt(0)
	s_delay_alu instid0(VALU_DEP_3) | instskip(NEXT) | instid1(VALU_DEP_3)
	v_fma_f64 v[43:44], v[0:1], v[47:48], v[45:46]
	v_fma_f64 v[45:46], v[2:3], v[47:48], v[49:50]
	v_fma_f64 v[0:1], v[47:48], v[39:40], -v[51:52]
	s_delay_alu instid0(VALU_DEP_4)
	v_fma_f64 v[2:3], v[47:48], v[41:42], -v[53:54]
	global_store_b128 v[12:13], v[43:46], off offset:-8
	v_dual_mov_b32 v12, v14 :: v_dual_mov_b32 v13, v15
	s_cbranch_scc0 .LBB20_57
	s_branch .LBB20_55
.LBB20_58:                              ;   in Loop: Header=BB20_4 Depth=1
	s_or_b32 exec_lo, exec_lo, s46
	s_mov_b32 s2, 0
.LBB20_59:                              ;   in Loop: Header=BB20_4 Depth=1
	s_delay_alu instid0(SALU_CYCLE_1)
	s_and_not1_b32 vcc_lo, exec_lo, s2
	s_cbranch_vccnz .LBB20_3
; %bb.60:                               ;   in Loop: Header=BB20_4 Depth=1
	v_add_co_u32 v7, vcc_lo, v32, s79
	s_add_u32 s44, s13, s80
	v_add_co_ci_u32_e32 v8, vcc_lo, s76, v33, vcc_lo
	s_addc_u32 s45, s27, s50
	s_add_u32 s46, s31, s81
	s_addc_u32 s47, s72, s51
	s_and_not1_b32 vcc_lo, exec_lo, s61
	s_mov_b32 s2, -1
	s_cbranch_vccnz .LBB20_68
; %bb.61:                               ;   in Loop: Header=BB20_4 Depth=1
	s_and_saveexec_b32 s80, s1
	s_cbranch_execz .LBB20_67
; %bb.62:                               ;   in Loop: Header=BB20_4 Depth=1
	v_add_co_u32 v14, vcc_lo, v30, s79
	v_add_co_ci_u32_e32 v15, vcc_lo, s76, v31, vcc_lo
	s_lshl_b64 s[2:3], s[28:29], 4
	v_dual_mov_b32 v10, v8 :: v_dual_mov_b32 v9, v7
	v_mov_b32_e32 v11, v4
	s_add_u32 s81, s77, s2
	s_addc_u32 s82, s78, s3
	s_mov_b32 s83, 0
	s_branch .LBB20_64
.LBB20_63:                              ;   in Loop: Header=BB20_64 Depth=2
	s_set_inst_prefetch_distance 0x2
	v_add_co_u32 v12, vcc_lo, s77, v12
	v_add_nc_u32_e32 v11, s26, v11
	v_add_co_ci_u32_e32 v13, vcc_lo, s78, v13, vcc_lo
	v_add_co_u32 v14, vcc_lo, v14, s38
	v_add_co_ci_u32_e32 v15, vcc_lo, s39, v15, vcc_lo
	s_delay_alu instid0(VALU_DEP_4) | instskip(SKIP_1) | instid1(VALU_DEP_1)
	v_cmp_le_i32_e32 vcc_lo, s19, v11
	v_add_co_u32 v9, s2, v9, s38
	v_add_co_ci_u32_e64 v10, s2, s39, v10, s2
	s_or_b32 s83, vcc_lo, s83
	s_waitcnt vmcnt(0)
	global_store_b128 v[12:13], v[0:3], off
	s_and_not1_b32 exec_lo, exec_lo, s83
	s_cbranch_execz .LBB20_67
.LBB20_64:                              ;   Parent Loop BB20_4 Depth=1
                                        ; =>  This Loop Header: Depth=2
                                        ;       Child Loop BB20_66 Depth 3
	v_ashrrev_i32_e32 v12, 31, v11
	s_delay_alu instid0(VALU_DEP_1) | instskip(NEXT) | instid1(VALU_DEP_1)
	v_lshlrev_b64 v[12:13], 4, v[11:12]
	v_add_co_u32 v0, vcc_lo, s81, v12
	s_delay_alu instid0(VALU_DEP_2)
	v_add_co_ci_u32_e32 v1, vcc_lo, s82, v13, vcc_lo
	s_and_not1_b32 vcc_lo, exec_lo, s62
	global_load_b128 v[0:3], v[0:1], off
	s_cbranch_vccnz .LBB20_63
; %bb.65:                               ;   in Loop: Header=BB20_64 Depth=2
	s_mov_b64 s[2:3], 0
	s_mov_b64 s[48:49], s[46:47]
	;; [unrolled: 1-line block ×3, first 2 shown]
	s_mov_b32 s84, s60
	s_set_inst_prefetch_distance 0x1
	.p2align	6
.LBB20_66:                              ;   Parent Loop BB20_4 Depth=1
                                        ;     Parent Loop BB20_64 Depth=2
                                        ; =>    This Inner Loop Header: Depth=3
	v_add_co_u32 v39, vcc_lo, v14, s2
	v_add_co_ci_u32_e32 v40, vcc_lo, s3, v15, vcc_lo
	s_add_i32 s84, s84, -1
	s_clause 0x1
	global_load_b64 v[43:44], v38, s[50:51]
	global_load_b64 v[45:46], v38, s[48:49]
	global_load_b128 v[39:42], v[39:40], off
	s_waitcnt vmcnt(0)
	v_mul_f64 v[47:48], v[45:46], v[39:40]
	v_mul_f64 v[49:50], v[45:46], v[41:42]
	;; [unrolled: 1-line block ×4, first 2 shown]
	s_delay_alu instid0(VALU_DEP_4) | instskip(NEXT) | instid1(VALU_DEP_4)
	v_fma_f64 v[39:40], v[0:1], v[43:44], -v[47:48]
	v_fma_f64 v[41:42], v[2:3], v[43:44], -v[49:50]
	s_delay_alu instid0(VALU_DEP_4) | instskip(NEXT) | instid1(VALU_DEP_4)
	v_fma_f64 v[0:1], v[0:1], v[45:46], v[51:52]
	v_fma_f64 v[2:3], v[2:3], v[45:46], v[53:54]
	v_add_co_u32 v43, vcc_lo, v9, s2
	s_sub_u32 s2, s2, s40
	v_add_co_ci_u32_e32 v44, vcc_lo, s3, v10, vcc_lo
	s_subb_u32 s3, s3, s41
	s_add_u32 s50, s50, -8
	s_addc_u32 s51, s51, -1
	s_add_u32 s48, s48, -8
	s_addc_u32 s49, s49, -1
	s_cmp_eq_u32 s84, 0
	global_store_b128 v[43:44], v[39:42], off offset:-8
	s_cbranch_scc0 .LBB20_66
	s_branch .LBB20_63
.LBB20_67:                              ;   in Loop: Header=BB20_4 Depth=1
	s_or_b32 exec_lo, exec_lo, s80
	s_mov_b32 s2, 0
.LBB20_68:                              ;   in Loop: Header=BB20_4 Depth=1
	s_delay_alu instid0(SALU_CYCLE_1)
	s_and_not1_b32 vcc_lo, exec_lo, s2
	s_cbranch_vccnz .LBB20_3
; %bb.69:                               ;   in Loop: Header=BB20_4 Depth=1
	s_and_not1_b32 vcc_lo, exec_lo, s63
	s_mov_b32 s2, -1
	s_cbranch_vccnz .LBB20_76
; %bb.70:                               ;   in Loop: Header=BB20_4 Depth=1
	s_and_saveexec_b32 s50, s1
	s_cbranch_execz .LBB20_75
; %bb.71:                               ;   in Loop: Header=BB20_4 Depth=1
	v_add_co_u32 v9, vcc_lo, v34, s79
	v_add_co_ci_u32_e32 v10, vcc_lo, s76, v35, vcc_lo
	v_mov_b32_e32 v11, v4
	s_mov_b32 s51, 0
	s_branch .LBB20_73
.LBB20_72:                              ;   in Loop: Header=BB20_73 Depth=2
	v_add_nc_u32_e32 v11, s26, v11
	v_add_co_u32 v9, s2, v9, s38
	s_delay_alu instid0(VALU_DEP_1) | instskip(NEXT) | instid1(VALU_DEP_3)
	v_add_co_ci_u32_e64 v10, s2, s39, v10, s2
	v_cmp_le_i32_e32 vcc_lo, s19, v11
	s_waitcnt vmcnt(0)
	global_store_b128 v[12:13], v[0:3], off
	s_or_b32 s51, vcc_lo, s51
	s_delay_alu instid0(SALU_CYCLE_1)
	s_and_not1_b32 exec_lo, exec_lo, s51
	s_cbranch_execz .LBB20_75
.LBB20_73:                              ;   Parent Loop BB20_4 Depth=1
                                        ; =>  This Loop Header: Depth=2
                                        ;       Child Loop BB20_74 Depth 3
	s_delay_alu instid0(VALU_DEP_1) | instskip(SKIP_3) | instid1(VALU_DEP_2)
	v_ashrrev_i32_e32 v12, 31, v11
	v_dual_mov_b32 v15, v10 :: v_dual_mov_b32 v14, v9
	s_mov_b32 s80, s60
	s_mov_b64 s[2:3], s[20:21]
	v_lshlrev_b64 v[0:1], 4, v[11:12]
	s_mov_b64 s[48:49], s[42:43]
	s_delay_alu instid0(VALU_DEP_1) | instskip(NEXT) | instid1(VALU_DEP_2)
	v_add_co_u32 v12, vcc_lo, s77, v0
	v_add_co_ci_u32_e32 v13, vcc_lo, s78, v1, vcc_lo
	s_and_not1_b32 vcc_lo, exec_lo, s62
	global_load_b128 v[0:3], v[12:13], off
	s_cbranch_vccnz .LBB20_72
	.p2align	6
.LBB20_74:                              ;   Parent Loop BB20_4 Depth=1
                                        ;     Parent Loop BB20_73 Depth=2
                                        ; =>    This Inner Loop Header: Depth=3
	s_clause 0x1
	global_load_b64 v[43:44], v38, s[48:49]
	global_load_b64 v[45:46], v38, s[2:3]
	global_load_b128 v[39:42], v[14:15], off offset:-8
	s_add_u32 s48, s48, 8
	s_addc_u32 s49, s49, 0
	s_add_u32 s2, s2, 8
	s_addc_u32 s3, s3, 0
	s_add_i32 s80, s80, -1
	s_delay_alu instid0(SALU_CYCLE_1)
	s_cmp_eq_u32 s80, 0
	s_waitcnt vmcnt(2)
	v_mul_f64 v[47:48], v[0:1], v[43:44]
	v_mul_f64 v[49:50], v[2:3], v[43:44]
	s_waitcnt vmcnt(0)
	v_mul_f64 v[51:52], v[43:44], v[39:40]
	v_mul_f64 v[43:44], v[43:44], v[41:42]
	s_delay_alu instid0(VALU_DEP_4) | instskip(NEXT) | instid1(VALU_DEP_4)
	v_fma_f64 v[39:40], v[45:46], v[39:40], -v[47:48]
	v_fma_f64 v[41:42], v[45:46], v[41:42], -v[49:50]
	s_delay_alu instid0(VALU_DEP_4) | instskip(NEXT) | instid1(VALU_DEP_4)
	v_fma_f64 v[0:1], v[0:1], v[45:46], v[51:52]
	v_fma_f64 v[2:3], v[2:3], v[45:46], v[43:44]
	global_store_b128 v[14:15], v[39:42], off offset:-8
	v_add_co_u32 v14, vcc_lo, v14, s40
	v_add_co_ci_u32_e32 v15, vcc_lo, s41, v15, vcc_lo
	s_cbranch_scc0 .LBB20_74
	s_branch .LBB20_72
.LBB20_75:                              ;   in Loop: Header=BB20_4 Depth=1
	s_or_b32 exec_lo, exec_lo, s50
	s_mov_b32 s2, 0
.LBB20_76:                              ;   in Loop: Header=BB20_4 Depth=1
	s_delay_alu instid0(SALU_CYCLE_1)
	s_and_not1_b32 vcc_lo, exec_lo, s2
	s_cbranch_vccnz .LBB20_3
; %bb.77:                               ;   in Loop: Header=BB20_4 Depth=1
	s_and_not1_b32 vcc_lo, exec_lo, s64
	s_mov_b32 s2, -1
	s_cbranch_vccnz .LBB20_84
; %bb.78:                               ;   in Loop: Header=BB20_4 Depth=1
	s_and_saveexec_b32 s50, s1
	s_cbranch_execz .LBB20_83
; %bb.79:                               ;   in Loop: Header=BB20_4 Depth=1
	v_mov_b32_e32 v9, v4
	s_mov_b32 s51, 0
	s_branch .LBB20_81
.LBB20_80:                              ;   in Loop: Header=BB20_81 Depth=2
	v_add_nc_u32_e32 v9, s26, v9
	v_add_co_u32 v7, s2, v7, s38
	s_delay_alu instid0(VALU_DEP_1) | instskip(NEXT) | instid1(VALU_DEP_3)
	v_add_co_ci_u32_e64 v8, s2, s39, v8, s2
	v_cmp_le_i32_e32 vcc_lo, s19, v9
	s_waitcnt vmcnt(0)
	global_store_b128 v[10:11], v[0:3], off
	s_or_b32 s51, vcc_lo, s51
	s_delay_alu instid0(SALU_CYCLE_1)
	s_and_not1_b32 exec_lo, exec_lo, s51
	s_cbranch_execz .LBB20_83
.LBB20_81:                              ;   Parent Loop BB20_4 Depth=1
                                        ; =>  This Loop Header: Depth=2
                                        ;       Child Loop BB20_82 Depth 3
	s_delay_alu instid0(VALU_DEP_1) | instskip(SKIP_3) | instid1(VALU_DEP_2)
	v_ashrrev_i32_e32 v10, 31, v9
	v_dual_mov_b32 v13, v8 :: v_dual_mov_b32 v12, v7
	s_mov_b64 s[2:3], s[46:47]
	s_mov_b64 s[48:49], s[44:45]
	v_lshlrev_b64 v[0:1], 4, v[9:10]
	s_mov_b32 s80, s73
	s_delay_alu instid0(VALU_DEP_1) | instskip(NEXT) | instid1(VALU_DEP_2)
	v_add_co_u32 v10, vcc_lo, s77, v0
	v_add_co_ci_u32_e32 v11, vcc_lo, s78, v1, vcc_lo
	s_and_not1_b32 vcc_lo, exec_lo, s62
	global_load_b128 v[0:3], v[10:11], off
	s_cbranch_vccnz .LBB20_80
	.p2align	6
.LBB20_82:                              ;   Parent Loop BB20_4 Depth=1
                                        ;     Parent Loop BB20_81 Depth=2
                                        ; =>    This Inner Loop Header: Depth=3
	s_clause 0x1
	global_load_b64 v[14:15], v38, s[2:3]
	global_load_b64 v[43:44], v38, s[48:49]
	global_load_b128 v[39:42], v[12:13], off offset:-8
	s_add_i32 s80, s80, -1
	s_add_u32 s48, s48, -8
	s_addc_u32 s49, s49, -1
	s_add_u32 s2, s2, -8
	s_addc_u32 s3, s3, -1
	s_cmp_lt_u32 s80, 3
	s_waitcnt vmcnt(2)
	v_mul_f64 v[45:46], v[0:1], v[14:15]
	v_mul_f64 v[47:48], v[2:3], v[14:15]
	s_waitcnt vmcnt(0)
	v_mul_f64 v[49:50], v[14:15], v[39:40]
	v_mul_f64 v[14:15], v[14:15], v[41:42]
	s_delay_alu instid0(VALU_DEP_4) | instskip(NEXT) | instid1(VALU_DEP_4)
	v_fma_f64 v[39:40], v[43:44], v[39:40], -v[45:46]
	v_fma_f64 v[41:42], v[43:44], v[41:42], -v[47:48]
	s_delay_alu instid0(VALU_DEP_4) | instskip(NEXT) | instid1(VALU_DEP_4)
	v_fma_f64 v[0:1], v[0:1], v[43:44], v[49:50]
	v_fma_f64 v[2:3], v[2:3], v[43:44], v[14:15]
	global_store_b128 v[12:13], v[39:42], off offset:-8
	v_add_co_u32 v12, vcc_lo, v12, s74
	v_add_co_ci_u32_e32 v13, vcc_lo, s75, v13, vcc_lo
	s_cbranch_scc0 .LBB20_82
	s_branch .LBB20_80
.LBB20_83:                              ;   in Loop: Header=BB20_4 Depth=1
	s_or_b32 exec_lo, exec_lo, s50
	s_mov_b32 s2, 0
.LBB20_84:                              ;   in Loop: Header=BB20_4 Depth=1
	s_delay_alu instid0(SALU_CYCLE_1)
	s_and_not1_b32 vcc_lo, exec_lo, s2
	s_cbranch_vccnz .LBB20_3
; %bb.85:                               ;   in Loop: Header=BB20_4 Depth=1
	s_and_not1_b32 vcc_lo, exec_lo, s65
	s_mov_b32 s2, -1
	s_cbranch_vccnz .LBB20_92
; %bb.86:                               ;   in Loop: Header=BB20_4 Depth=1
	s_and_saveexec_b32 s50, s1
	s_cbranch_execz .LBB20_91
; %bb.87:                               ;   in Loop: Header=BB20_4 Depth=1
	s_lshl_b64 s[2:3], s[28:29], 4
	v_mov_b32_e32 v7, v4
	s_add_u32 s51, s77, s2
	s_addc_u32 s80, s78, s3
	s_mov_b32 s81, 0
	s_branch .LBB20_89
.LBB20_88:                              ;   in Loop: Header=BB20_89 Depth=2
	v_add_nc_u32_e32 v7, s26, v7
	v_add_co_u32 v5, s2, v5, s38
	s_delay_alu instid0(VALU_DEP_1) | instskip(NEXT) | instid1(VALU_DEP_3)
	v_add_co_ci_u32_e64 v6, s2, s39, v6, s2
	v_cmp_le_i32_e32 vcc_lo, s19, v7
	s_waitcnt vmcnt(0)
	global_store_b128 v[8:9], v[0:3], off
	s_or_b32 s81, vcc_lo, s81
	s_delay_alu instid0(SALU_CYCLE_1)
	s_and_not1_b32 exec_lo, exec_lo, s81
	s_cbranch_execz .LBB20_91
.LBB20_89:                              ;   Parent Loop BB20_4 Depth=1
                                        ; =>  This Loop Header: Depth=2
                                        ;       Child Loop BB20_90 Depth 3
	v_ashrrev_i32_e32 v8, 31, v7
	v_dual_mov_b32 v11, v6 :: v_dual_mov_b32 v10, v5
	s_mov_b64 s[2:3], s[42:43]
	s_mov_b64 s[48:49], s[20:21]
	s_delay_alu instid0(VALU_DEP_2) | instskip(SKIP_1) | instid1(VALU_DEP_1)
	v_lshlrev_b64 v[0:1], 4, v[7:8]
	s_mov_b32 s82, s60
	v_add_co_u32 v8, vcc_lo, s51, v0
	s_delay_alu instid0(VALU_DEP_2)
	v_add_co_ci_u32_e32 v9, vcc_lo, s80, v1, vcc_lo
	s_and_not1_b32 vcc_lo, exec_lo, s62
	global_load_b128 v[0:3], v[8:9], off
	s_cbranch_vccnz .LBB20_88
	.p2align	6
.LBB20_90:                              ;   Parent Loop BB20_4 Depth=1
                                        ;     Parent Loop BB20_89 Depth=2
                                        ; =>    This Inner Loop Header: Depth=3
	global_load_b128 v[12:15], v[10:11], off offset:-8
	s_clause 0x1
	global_load_b64 v[39:40], v38, s[48:49]
	global_load_b64 v[41:42], v38, s[2:3]
	s_add_i32 s82, s82, -1
	s_add_u32 s48, s48, 8
	s_addc_u32 s49, s49, 0
	s_add_u32 s2, s2, 8
	s_addc_u32 s3, s3, 0
	s_cmp_eq_u32 s82, 0
	s_waitcnt vmcnt(1)
	v_mul_f64 v[43:44], v[39:40], v[12:13]
	v_mul_f64 v[45:46], v[39:40], v[14:15]
	s_waitcnt vmcnt(0)
	v_mul_f64 v[47:48], v[41:42], v[12:13]
	v_mul_f64 v[49:50], v[41:42], v[14:15]
	s_delay_alu instid0(VALU_DEP_4) | instskip(NEXT) | instid1(VALU_DEP_4)
	v_fma_f64 v[12:13], v[0:1], v[41:42], v[43:44]
	v_fma_f64 v[14:15], v[2:3], v[41:42], v[45:46]
	s_delay_alu instid0(VALU_DEP_4) | instskip(NEXT) | instid1(VALU_DEP_4)
	v_fma_f64 v[0:1], v[0:1], v[39:40], -v[47:48]
	v_fma_f64 v[2:3], v[2:3], v[39:40], -v[49:50]
	global_store_b128 v[10:11], v[12:15], off offset:-8
	v_add_co_u32 v10, vcc_lo, v10, s40
	v_add_co_ci_u32_e32 v11, vcc_lo, s41, v11, vcc_lo
	s_cbranch_scc0 .LBB20_90
	s_branch .LBB20_88
.LBB20_91:                              ;   in Loop: Header=BB20_4 Depth=1
	s_or_b32 exec_lo, exec_lo, s50
	s_mov_b32 s2, 0
.LBB20_92:                              ;   in Loop: Header=BB20_4 Depth=1
	s_delay_alu instid0(SALU_CYCLE_1)
	s_and_not1_b32 vcc_lo, exec_lo, s2
	s_cbranch_vccnz .LBB20_3
; %bb.93:                               ;   in Loop: Header=BB20_4 Depth=1
	s_and_saveexec_b32 s42, s66
	s_cbranch_execz .LBB20_2
; %bb.94:                               ;   in Loop: Header=BB20_4 Depth=1
	v_add_co_u32 v5, vcc_lo, v36, s79
	v_add_co_ci_u32_e32 v6, vcc_lo, s76, v37, vcc_lo
	s_lshl_b64 s[2:3], s[28:29], 4
	v_mov_b32_e32 v7, v4
	s_add_u32 s43, s77, s2
	s_addc_u32 s48, s78, s3
	s_mov_b32 s49, 0
	s_branch .LBB20_96
.LBB20_95:                              ;   in Loop: Header=BB20_96 Depth=2
	v_add_nc_u32_e32 v7, s26, v7
	v_add_co_u32 v5, s2, v5, s38
	s_delay_alu instid0(VALU_DEP_1) | instskip(NEXT) | instid1(VALU_DEP_3)
	v_add_co_ci_u32_e64 v6, s2, s39, v6, s2
	v_cmp_le_i32_e32 vcc_lo, s19, v7
	s_waitcnt vmcnt(0)
	global_store_b128 v[8:9], v[0:3], off
	s_or_b32 s49, vcc_lo, s49
	s_delay_alu instid0(SALU_CYCLE_1)
	s_and_not1_b32 exec_lo, exec_lo, s49
	s_cbranch_execz .LBB20_2
.LBB20_96:                              ;   Parent Loop BB20_4 Depth=1
                                        ; =>  This Loop Header: Depth=2
                                        ;       Child Loop BB20_97 Depth 3
	v_ashrrev_i32_e32 v8, 31, v7
	v_dual_mov_b32 v11, v6 :: v_dual_mov_b32 v10, v5
	s_mov_b64 s[2:3], s[46:47]
	s_mov_b64 s[20:21], s[44:45]
	s_delay_alu instid0(VALU_DEP_2) | instskip(SKIP_1) | instid1(VALU_DEP_1)
	v_lshlrev_b64 v[0:1], 4, v[7:8]
	s_mov_b32 s50, s60
	v_add_co_u32 v8, vcc_lo, s43, v0
	s_delay_alu instid0(VALU_DEP_2)
	v_add_co_ci_u32_e32 v9, vcc_lo, s48, v1, vcc_lo
	s_and_not1_b32 vcc_lo, exec_lo, s62
	global_load_b128 v[0:3], v[8:9], off
	s_cbranch_vccnz .LBB20_95
	.p2align	6
.LBB20_97:                              ;   Parent Loop BB20_4 Depth=1
                                        ;     Parent Loop BB20_96 Depth=2
                                        ; =>    This Inner Loop Header: Depth=3
	global_load_b128 v[12:15], v[10:11], off offset:-8
	s_clause 0x1
	global_load_b64 v[39:40], v38, s[20:21]
	global_load_b64 v[41:42], v38, s[2:3]
	s_add_i32 s50, s50, -1
	s_add_u32 s20, s20, -8
	s_addc_u32 s21, s21, -1
	s_add_u32 s2, s2, -8
	s_addc_u32 s3, s3, -1
	s_cmp_eq_u32 s50, 0
	s_waitcnt vmcnt(1)
	v_mul_f64 v[43:44], v[39:40], v[12:13]
	v_mul_f64 v[45:46], v[39:40], v[14:15]
	s_waitcnt vmcnt(0)
	v_mul_f64 v[47:48], v[41:42], v[12:13]
	v_mul_f64 v[49:50], v[41:42], v[14:15]
	s_delay_alu instid0(VALU_DEP_4) | instskip(NEXT) | instid1(VALU_DEP_4)
	v_fma_f64 v[12:13], v[0:1], v[41:42], v[43:44]
	v_fma_f64 v[14:15], v[2:3], v[41:42], v[45:46]
	s_delay_alu instid0(VALU_DEP_4) | instskip(NEXT) | instid1(VALU_DEP_4)
	v_fma_f64 v[0:1], v[0:1], v[39:40], -v[47:48]
	v_fma_f64 v[2:3], v[2:3], v[39:40], -v[49:50]
	global_store_b128 v[10:11], v[12:15], off offset:-8
	v_add_co_u32 v10, vcc_lo, v10, s74
	v_add_co_ci_u32_e32 v11, vcc_lo, s75, v11, vcc_lo
	s_cbranch_scc0 .LBB20_97
	s_branch .LBB20_95
.LBB20_98:
	s_nop 0
	s_sendmsg sendmsg(MSG_DEALLOC_VGPRS)
	s_endpgm
	.section	.rodata,"a",@progbits
	.p2align	6, 0x0
	.amdhsa_kernel _ZN9rocsolver6v33100L11lasr_kernelI19rocblas_complex_numIdEdPS3_iEEv13rocblas_side_14rocblas_pivot_15rocblas_direct_T2_S8_PT0_lSA_lT1_lS8_lS8_
		.amdhsa_group_segment_fixed_size 0
		.amdhsa_private_segment_fixed_size 0
		.amdhsa_kernarg_size 352
		.amdhsa_user_sgpr_count 14
		.amdhsa_user_sgpr_dispatch_ptr 0
		.amdhsa_user_sgpr_queue_ptr 0
		.amdhsa_user_sgpr_kernarg_segment_ptr 1
		.amdhsa_user_sgpr_dispatch_id 0
		.amdhsa_user_sgpr_private_segment_size 0
		.amdhsa_wavefront_size32 1
		.amdhsa_uses_dynamic_stack 0
		.amdhsa_enable_private_segment 0
		.amdhsa_system_sgpr_workgroup_id_x 1
		.amdhsa_system_sgpr_workgroup_id_y 0
		.amdhsa_system_sgpr_workgroup_id_z 1
		.amdhsa_system_sgpr_workgroup_info 0
		.amdhsa_system_vgpr_workitem_id 0
		.amdhsa_next_free_vgpr 55
		.amdhsa_next_free_sgpr 87
		.amdhsa_reserve_vcc 1
		.amdhsa_float_round_mode_32 0
		.amdhsa_float_round_mode_16_64 0
		.amdhsa_float_denorm_mode_32 3
		.amdhsa_float_denorm_mode_16_64 3
		.amdhsa_dx10_clamp 1
		.amdhsa_ieee_mode 1
		.amdhsa_fp16_overflow 0
		.amdhsa_workgroup_processor_mode 1
		.amdhsa_memory_ordered 1
		.amdhsa_forward_progress 0
		.amdhsa_shared_vgpr_count 0
		.amdhsa_exception_fp_ieee_invalid_op 0
		.amdhsa_exception_fp_denorm_src 0
		.amdhsa_exception_fp_ieee_div_zero 0
		.amdhsa_exception_fp_ieee_overflow 0
		.amdhsa_exception_fp_ieee_underflow 0
		.amdhsa_exception_fp_ieee_inexact 0
		.amdhsa_exception_int_div_zero 0
	.end_amdhsa_kernel
	.section	.text._ZN9rocsolver6v33100L11lasr_kernelI19rocblas_complex_numIdEdPS3_iEEv13rocblas_side_14rocblas_pivot_15rocblas_direct_T2_S8_PT0_lSA_lT1_lS8_lS8_,"axG",@progbits,_ZN9rocsolver6v33100L11lasr_kernelI19rocblas_complex_numIdEdPS3_iEEv13rocblas_side_14rocblas_pivot_15rocblas_direct_T2_S8_PT0_lSA_lT1_lS8_lS8_,comdat
.Lfunc_end20:
	.size	_ZN9rocsolver6v33100L11lasr_kernelI19rocblas_complex_numIdEdPS3_iEEv13rocblas_side_14rocblas_pivot_15rocblas_direct_T2_S8_PT0_lSA_lT1_lS8_lS8_, .Lfunc_end20-_ZN9rocsolver6v33100L11lasr_kernelI19rocblas_complex_numIdEdPS3_iEEv13rocblas_side_14rocblas_pivot_15rocblas_direct_T2_S8_PT0_lSA_lT1_lS8_lS8_
                                        ; -- End function
	.section	.AMDGPU.csdata,"",@progbits
; Kernel info:
; codeLenInByte = 5308
; NumSgprs: 89
; NumVgprs: 55
; ScratchSize: 0
; MemoryBound: 0
; FloatMode: 240
; IeeeMode: 1
; LDSByteSize: 0 bytes/workgroup (compile time only)
; SGPRBlocks: 11
; VGPRBlocks: 6
; NumSGPRsForWavesPerEU: 89
; NumVGPRsForWavesPerEU: 55
; Occupancy: 16
; WaveLimiterHint : 0
; COMPUTE_PGM_RSRC2:SCRATCH_EN: 0
; COMPUTE_PGM_RSRC2:USER_SGPR: 14
; COMPUTE_PGM_RSRC2:TRAP_HANDLER: 0
; COMPUTE_PGM_RSRC2:TGID_X_EN: 1
; COMPUTE_PGM_RSRC2:TGID_Y_EN: 0
; COMPUTE_PGM_RSRC2:TGID_Z_EN: 1
; COMPUTE_PGM_RSRC2:TIDIG_COMP_CNT: 0
	.section	.text._ZN9rocsolver6v33100L11swap_kernelI19rocblas_complex_numIdEiEEvT0_PT_S4_S6_S4_,"axG",@progbits,_ZN9rocsolver6v33100L11swap_kernelI19rocblas_complex_numIdEiEEvT0_PT_S4_S6_S4_,comdat
	.globl	_ZN9rocsolver6v33100L11swap_kernelI19rocblas_complex_numIdEiEEvT0_PT_S4_S6_S4_ ; -- Begin function _ZN9rocsolver6v33100L11swap_kernelI19rocblas_complex_numIdEiEEvT0_PT_S4_S6_S4_
	.p2align	8
	.type	_ZN9rocsolver6v33100L11swap_kernelI19rocblas_complex_numIdEiEEvT0_PT_S4_S6_S4_,@function
_ZN9rocsolver6v33100L11swap_kernelI19rocblas_complex_numIdEiEEvT0_PT_S4_S6_S4_: ; @_ZN9rocsolver6v33100L11swap_kernelI19rocblas_complex_numIdEiEEvT0_PT_S4_S6_S4_
; %bb.0:
	s_load_b32 s12, s[2:3], 0x0
	s_waitcnt lgkmcnt(0)
	s_cmp_lt_i32 s12, 1
	s_cbranch_scc1 .LBB21_10
; %bb.1:
	s_load_b64 s[6:7], s[0:1], 0x4
	s_clause 0x5
	s_load_b32 s0, s[2:3], 0x34
	s_load_b32 s1, s[2:3], 0x10
	;; [unrolled: 1-line block ×4, first 2 shown]
	s_load_b64 s[4:5], s[2:3], 0x8
	s_load_b64 s[2:3], s[2:3], 0x18
	v_and_b32_e32 v2, 0x3ff, v0
	v_bfe_u32 v3, v0, 10, 10
	v_bfe_u32 v4, v0, 20, 10
	s_waitcnt lgkmcnt(0)
	s_lshr_b32 s6, s6, 16
	s_and_b32 s0, s0, 0xffff
	s_mul_i32 s6, s6, s7
	v_mad_u64_u32 v[0:1], null, s15, s0, v[2:3]
	v_mul_lo_u32 v1, s6, v2
	s_cmp_eq_u32 s1, 1
	v_mul_u32_u24_e32 v2, s7, v3
	s_cselect_b32 s10, -1, 0
	s_cmp_eq_u32 s8, 1
	s_mul_i32 s6, s9, s0
	s_cselect_b32 s7, -1, 0
	v_cmp_gt_i32_e64 s0, s12, v0
	v_add3_u32 v5, v1, v2, v4
	s_and_b32 s7, s10, s7
	s_delay_alu instid0(SALU_CYCLE_1)
	s_and_b32 vcc_lo, exec_lo, s7
	s_mov_b32 s7, -1
	s_cbranch_vccnz .LBB21_6
; %bb.2:
	s_and_saveexec_b32 s7, s0
	s_cbranch_execz .LBB21_5
; %bb.3:
	v_mad_i64_i32 v[1:2], null, s8, v0, 0
	v_mad_i64_i32 v[3:4], null, s1, v0, 0
	v_dual_mov_b32 v7, v0 :: v_dual_lshlrev_b32 v6, 4, v5
	s_mul_hi_i32 s9, s8, s6
	s_mul_i32 s8, s8, s6
	s_delay_alu instid0(VALU_DEP_3) | instskip(SKIP_1) | instid1(VALU_DEP_3)
	v_lshlrev_b64 v[1:2], 4, v[1:2]
	s_mul_hi_i32 s11, s1, s6
	v_lshlrev_b64 v[3:4], 4, v[3:4]
	s_mul_i32 s10, s1, s6
	s_lshl_b64 s[8:9], s[8:9], 4
	s_lshl_b64 s[10:11], s[10:11], 4
	v_add_co_u32 v1, vcc_lo, s2, v1
	v_add_co_ci_u32_e32 v2, vcc_lo, s3, v2, vcc_lo
	v_add_co_u32 v3, vcc_lo, s4, v3
	v_add_co_ci_u32_e32 v4, vcc_lo, s5, v4, vcc_lo
	s_mov_b32 s13, 0
	.p2align	6
.LBB21_4:                               ; =>This Inner Loop Header: Depth=1
	global_load_b128 v[8:11], v[3:4], off
	global_load_b128 v[12:15], v[1:2], off
	v_add_nc_u32_e32 v7, s6, v7
	s_waitcnt vmcnt(1)
	global_store_b128 v[1:2], v[8:11], off
	s_waitcnt vmcnt(0)
	global_store_b128 v[3:4], v[12:15], off
	v_add_co_u32 v1, s1, v1, s8
	s_delay_alu instid0(VALU_DEP_1) | instskip(SKIP_2) | instid1(VALU_DEP_1)
	v_add_co_ci_u32_e64 v2, s1, s9, v2, s1
	v_cmp_le_i32_e32 vcc_lo, s12, v7
	v_add_co_u32 v3, s1, v3, s10
	v_add_co_ci_u32_e64 v4, s1, s11, v4, s1
	s_or_b32 s13, vcc_lo, s13
	ds_store_2addr_b64 v6, v[12:13], v[14:15] offset1:1
	s_and_not1_b32 exec_lo, exec_lo, s13
	s_cbranch_execnz .LBB21_4
.LBB21_5:
	s_or_b32 exec_lo, exec_lo, s7
	s_mov_b32 s7, 0
.LBB21_6:
	s_delay_alu instid0(SALU_CYCLE_1)
	s_and_not1_b32 vcc_lo, exec_lo, s7
	s_cbranch_vccnz .LBB21_10
; %bb.7:
	s_and_saveexec_b32 s1, s0
	s_cbranch_execz .LBB21_10
; %bb.8:
	v_ashrrev_i32_e32 v1, 31, v0
	v_lshl_add_u32 v3, v5, 4, 0x4000
	s_ashr_i32 s7, s6, 31
	s_mov_b32 s1, 0
	s_lshl_b64 s[8:9], s[6:7], 4
	v_lshlrev_b64 v[1:2], 4, v[0:1]
	.p2align	6
.LBB21_9:                               ; =>This Inner Loop Header: Depth=1
	s_delay_alu instid0(VALU_DEP_1) | instskip(NEXT) | instid1(VALU_DEP_2)
	v_add_co_u32 v12, vcc_lo, s2, v1
	v_add_co_ci_u32_e32 v13, vcc_lo, s3, v2, vcc_lo
	v_add_co_u32 v14, vcc_lo, s4, v1
	v_add_co_ci_u32_e32 v15, vcc_lo, s5, v2, vcc_lo
	v_add_nc_u32_e32 v0, s6, v0
	global_load_b128 v[4:7], v[12:13], off
	global_load_b128 v[8:11], v[14:15], off
	v_add_co_u32 v1, s0, v1, s8
	v_cmp_le_i32_e32 vcc_lo, s12, v0
	v_add_co_ci_u32_e64 v2, s0, s9, v2, s0
	s_or_b32 s1, vcc_lo, s1
	s_waitcnt vmcnt(1)
	ds_store_2addr_b64 v3, v[4:5], v[6:7] offset1:1
	s_waitcnt vmcnt(0)
	global_store_b128 v[12:13], v[8:11], off
	global_store_b128 v[14:15], v[4:7], off
	s_and_not1_b32 exec_lo, exec_lo, s1
	s_cbranch_execnz .LBB21_9
.LBB21_10:
	s_nop 0
	s_sendmsg sendmsg(MSG_DEALLOC_VGPRS)
	s_endpgm
	.section	.rodata,"a",@progbits
	.p2align	6, 0x0
	.amdhsa_kernel _ZN9rocsolver6v33100L11swap_kernelI19rocblas_complex_numIdEiEEvT0_PT_S4_S6_S4_
		.amdhsa_group_segment_fixed_size 32768
		.amdhsa_private_segment_fixed_size 0
		.amdhsa_kernarg_size 296
		.amdhsa_user_sgpr_count 15
		.amdhsa_user_sgpr_dispatch_ptr 1
		.amdhsa_user_sgpr_queue_ptr 0
		.amdhsa_user_sgpr_kernarg_segment_ptr 1
		.amdhsa_user_sgpr_dispatch_id 0
		.amdhsa_user_sgpr_private_segment_size 0
		.amdhsa_wavefront_size32 1
		.amdhsa_uses_dynamic_stack 0
		.amdhsa_enable_private_segment 0
		.amdhsa_system_sgpr_workgroup_id_x 1
		.amdhsa_system_sgpr_workgroup_id_y 0
		.amdhsa_system_sgpr_workgroup_id_z 0
		.amdhsa_system_sgpr_workgroup_info 0
		.amdhsa_system_vgpr_workitem_id 2
		.amdhsa_next_free_vgpr 16
		.amdhsa_next_free_sgpr 16
		.amdhsa_reserve_vcc 1
		.amdhsa_float_round_mode_32 0
		.amdhsa_float_round_mode_16_64 0
		.amdhsa_float_denorm_mode_32 3
		.amdhsa_float_denorm_mode_16_64 3
		.amdhsa_dx10_clamp 1
		.amdhsa_ieee_mode 1
		.amdhsa_fp16_overflow 0
		.amdhsa_workgroup_processor_mode 1
		.amdhsa_memory_ordered 1
		.amdhsa_forward_progress 0
		.amdhsa_shared_vgpr_count 0
		.amdhsa_exception_fp_ieee_invalid_op 0
		.amdhsa_exception_fp_denorm_src 0
		.amdhsa_exception_fp_ieee_div_zero 0
		.amdhsa_exception_fp_ieee_overflow 0
		.amdhsa_exception_fp_ieee_underflow 0
		.amdhsa_exception_fp_ieee_inexact 0
		.amdhsa_exception_int_div_zero 0
	.end_amdhsa_kernel
	.section	.text._ZN9rocsolver6v33100L11swap_kernelI19rocblas_complex_numIdEiEEvT0_PT_S4_S6_S4_,"axG",@progbits,_ZN9rocsolver6v33100L11swap_kernelI19rocblas_complex_numIdEiEEvT0_PT_S4_S6_S4_,comdat
.Lfunc_end21:
	.size	_ZN9rocsolver6v33100L11swap_kernelI19rocblas_complex_numIdEiEEvT0_PT_S4_S6_S4_, .Lfunc_end21-_ZN9rocsolver6v33100L11swap_kernelI19rocblas_complex_numIdEiEEvT0_PT_S4_S6_S4_
                                        ; -- End function
	.section	.AMDGPU.csdata,"",@progbits
; Kernel info:
; codeLenInByte = 596
; NumSgprs: 18
; NumVgprs: 16
; ScratchSize: 0
; MemoryBound: 0
; FloatMode: 240
; IeeeMode: 1
; LDSByteSize: 32768 bytes/workgroup (compile time only)
; SGPRBlocks: 2
; VGPRBlocks: 1
; NumSGPRsForWavesPerEU: 18
; NumVGPRsForWavesPerEU: 16
; Occupancy: 16
; WaveLimiterHint : 0
; COMPUTE_PGM_RSRC2:SCRATCH_EN: 0
; COMPUTE_PGM_RSRC2:USER_SGPR: 15
; COMPUTE_PGM_RSRC2:TRAP_HANDLER: 0
; COMPUTE_PGM_RSRC2:TGID_X_EN: 1
; COMPUTE_PGM_RSRC2:TGID_Y_EN: 0
; COMPUTE_PGM_RSRC2:TGID_Z_EN: 0
; COMPUTE_PGM_RSRC2:TIDIG_COMP_CNT: 2
	.section	.text._ZN9rocsolver6v33100L12steqr_kernelI19rocblas_complex_numIdEdPS3_EEviPT0_lS6_lT1_iilPiS6_iS5_S5_S5_,"axG",@progbits,_ZN9rocsolver6v33100L12steqr_kernelI19rocblas_complex_numIdEdPS3_EEviPT0_lS6_lT1_iilPiS6_iS5_S5_S5_,comdat
	.globl	_ZN9rocsolver6v33100L12steqr_kernelI19rocblas_complex_numIdEdPS3_EEviPT0_lS6_lT1_iilPiS6_iS5_S5_S5_ ; -- Begin function _ZN9rocsolver6v33100L12steqr_kernelI19rocblas_complex_numIdEdPS3_EEviPT0_lS6_lT1_iilPiS6_iS5_S5_S5_
	.p2align	8
	.type	_ZN9rocsolver6v33100L12steqr_kernelI19rocblas_complex_numIdEdPS3_EEviPT0_lS6_lT1_iilPiS6_iS5_S5_S5_,@function
_ZN9rocsolver6v33100L12steqr_kernelI19rocblas_complex_numIdEdPS3_EEviPT0_lS6_lT1_iilPiS6_iS5_S5_S5_: ; @_ZN9rocsolver6v33100L12steqr_kernelI19rocblas_complex_numIdEdPS3_EEviPT0_lS6_lT1_iilPiS6_iS5_S5_S5_
; %bb.0:
	s_clause 0x1
	s_load_b32 s4, s[2:3], 0x7c
	s_load_b32 s5, s[2:3], 0x70
	v_and_b32_e32 v5, 0x3ff, v0
	s_mov_b32 s28, s15
	s_waitcnt lgkmcnt(0)
	s_and_b32 s7, s4, 0xffff
	s_delay_alu instid0(VALU_DEP_1) | instid1(SALU_CYCLE_1)
	v_mad_u64_u32 v[6:7], null, s14, s7, v[5:6]
	s_delay_alu instid0(VALU_DEP_1) | instskip(NEXT) | instid1(VALU_DEP_1)
	v_cmp_eq_u32_e64 s4, 0, v6
	s_and_saveexec_b32 s6, s4
	s_cbranch_execz .LBB22_2
; %bb.1:
	v_mov_b32_e32 v1, 0
	ds_store_2addr_b32 v1, v1, v1 offset0:6 offset1:9
.LBB22_2:
	s_or_b32 exec_lo, exec_lo, s6
	s_load_b256 s[16:23], s[2:3], 0x8
	v_mov_b32_e32 v8, 0
	s_load_b32 s6, s[2:3], 0x0
	s_waitcnt lgkmcnt(0)
	s_barrier
	buffer_gl0_inv
	ds_load_2addr_b32 v[1:2], v8 offset0:6 offset1:9
	s_clause 0x2
	s_load_b32 s33, s[2:3], 0x50
	s_load_b256 s[8:15], s[2:3], 0x28
	s_load_b64 s[52:53], s[2:3], 0x48
	s_mul_i32 s34, s5, s7
	s_ashr_i32 s29, s28, 31
	s_mul_i32 s5, s28, s19
	s_mul_hi_u32 s7, s28, s18
	s_mul_i32 s19, s29, s18
	s_add_i32 s5, s7, s5
	s_mul_i32 s18, s28, s18
	s_add_i32 s19, s5, s19
	s_mul_i32 s24, s28, s23
	s_mul_hi_u32 s25, s28, s22
	s_mul_i32 s26, s29, s22
	s_mul_i32 s38, s28, s22
	s_lshl_b64 s[22:23], s[18:19], 3
	s_waitcnt lgkmcnt(0)
	v_cmp_gt_i32_e32 vcc_lo, s6, v1
	v_cmp_gt_i32_e64 s5, s33, v2
	s_add_u32 s18, s16, s22
	s_mul_i32 s7, s28, s13
	s_addc_u32 s19, s17, s23
	s_add_i32 s13, s25, s24
	v_readfirstlane_b32 s62, v1
	s_add_i32 s39, s13, s26
	s_mul_hi_u32 s13, s28, s12
	s_and_b32 s5, vcc_lo, s5
	s_add_i32 s7, s13, s7
	s_mul_i32 s13, s29, s12
	s_ashr_i32 s31, s10, 31
	s_mov_b32 s30, s10
	s_add_i32 s13, s7, s13
	s_mul_i32 s12, s28, s12
	s_and_not1_b32 vcc_lo, exec_lo, s5
	s_add_i32 s36, s6, -1
	s_cbranch_vccnz .LBB22_232
; %bb.3:
	s_clause 0x1
	s_load_b128 s[24:27], s[2:3], 0x58
	s_load_b64 s[40:41], s[2:3], 0x68
	s_lshl_b64 s[2:3], s[38:39], 3
	s_lshl_b32 s5, s6, 1
	s_add_u32 s10, s20, s2
	s_addc_u32 s74, s21, s3
	s_lshl_b64 s[2:3], s[12:13], 4
	s_lshl_b64 s[44:45], s[30:31], 4
	s_mul_hi_i32 s43, s5, s28
	s_add_u32 s2, s2, s44
	s_mul_i32 s42, s5, s28
	s_addc_u32 s3, s3, s45
	s_add_u32 s75, s8, s2
	s_addc_u32 s76, s9, s3
	s_lshl_b64 s[54:55], s[42:43], 3
	v_ashrrev_i32_e32 v7, 31, v6
	s_add_u32 s77, s52, s54
	s_addc_u32 s78, s53, s55
	s_ashr_i32 s7, s6, 31
	s_ashr_i32 s43, s11, 31
	s_waitcnt lgkmcnt(0)
	v_mul_f64 v[10:11], s[24:25], s[24:25]
	s_add_u32 s44, s10, -8
	s_addc_u32 s45, s74, -1
	s_add_u32 s46, s77, -8
	s_addc_u32 s47, s78, -1
	s_add_u32 s79, s16, s22
	s_addc_u32 s80, s17, s23
	s_add_u32 s81, s79, 8
	v_lshlrev_b64 v[1:2], 4, v[6:7]
	s_addc_u32 s82, s80, 0
	s_ashr_i32 s35, s34, 31
	s_lshl_b64 s[48:49], s[6:7], 3
	s_lshl_b64 s[50:51], s[34:35], 3
	s_add_u32 s3, s54, s48
	s_addc_u32 s5, s55, s49
	s_add_u32 s3, s3, s52
	v_add_co_u32 v1, vcc_lo, s75, v1
	s_addc_u32 s5, s5, s53
	s_add_u32 s52, s3, -16
	v_add_co_ci_u32_e32 v2, vcc_lo, s76, v2, vcc_lo
	s_mov_b32 s42, s11
	s_addc_u32 s53, s5, -1
	s_add_u32 s7, s48, -8
	s_addc_u32 s83, s49, -1
	v_add_co_u32 v7, vcc_lo, v1, 8
	s_lshl_b64 s[54:55], s[42:43], 4
	s_lshl_b64 s[56:57], s[34:35], 4
	v_cmp_gt_i32_e64 s2, s6, v6
	v_add_co_ci_u32_e32 v57, vcc_lo, 0, v2, vcc_lo
	s_sub_u32 s35, 0, s54
	s_subb_u32 s84, 0, s55
	s_mov_b32 s58, 0x667f3bcd
	s_add_u32 s85, s79, -8
	s_mov_b32 s59, 0x3ff6a09e
	s_addc_u32 s86, s80, -1
	s_mov_b32 s61, 0
                                        ; implicit-def: $vgpr16_vgpr17
                                        ; implicit-def: $vgpr18_vgpr19
                                        ; implicit-def: $vgpr20_vgpr21
                                        ; implicit-def: $vgpr12_vgpr13
                                        ; implicit-def: $vgpr58
                                        ; implicit-def: $vgpr14_vgpr15
                                        ; implicit-def: $vgpr59
                                        ; implicit-def: $vgpr22_vgpr23
                                        ; implicit-def: $vgpr24_vgpr25
	s_branch .LBB22_7
.LBB22_4:                               ;   in Loop: Header=BB22_7 Depth=1
	s_or_b32 exec_lo, exec_lo, s5
.LBB22_5:                               ;   in Loop: Header=BB22_7 Depth=1
	s_waitcnt_vscnt null, 0x0
	s_barrier
	buffer_gl0_inv
.LBB22_6:                               ;   in Loop: Header=BB22_7 Depth=1
	ds_load_2addr_b32 v[1:2], v8 offset0:6 offset1:9
	v_dual_mov_b32 v59, v27 :: v_dual_mov_b32 v22, v30
	v_dual_mov_b32 v23, v31 :: v_dual_mov_b32 v24, v32
	v_mov_b32_e32 v25, v33
	s_waitcnt lgkmcnt(0)
	v_cmp_gt_i32_e32 vcc_lo, s6, v1
	v_cmp_gt_i32_e64 s3, s33, v2
	v_readfirstlane_b32 s62, v1
	s_delay_alu instid0(VALU_DEP_2) | instskip(NEXT) | instid1(SALU_CYCLE_1)
	s_and_b32 s3, vcc_lo, s3
	s_and_not1_b32 vcc_lo, exec_lo, s3
	s_cbranch_vccnz .LBB22_232
.LBB22_7:                               ; =>This Loop Header: Depth=1
                                        ;     Child Loop BB22_15 Depth 2
                                        ;     Child Loop BB22_28 Depth 2
	;; [unrolled: 1-line block ×5, first 2 shown]
                                        ;       Child Loop BB22_61 Depth 3
                                        ;       Child Loop BB22_80 Depth 3
	;; [unrolled: 1-line block ×3, first 2 shown]
                                        ;         Child Loop BB22_131 Depth 4
                                        ;     Child Loop BB22_137 Depth 2
                                        ;       Child Loop BB22_146 Depth 3
                                        ;       Child Loop BB22_165 Depth 3
	;; [unrolled: 1-line block ×3, first 2 shown]
                                        ;         Child Loop BB22_216 Depth 4
                                        ;     Child Loop BB22_224 Depth 2
                                        ;     Child Loop BB22_231 Depth 2
	s_and_saveexec_b32 s5, s4
	s_cbranch_execz .LBB22_31
; %bb.8:                                ;   in Loop: Header=BB22_7 Depth=1
	s_cmp_lt_i32 s62, 1
	s_cbranch_scc1 .LBB22_10
; %bb.9:                                ;   in Loop: Header=BB22_7 Depth=1
	s_mov_b32 s63, s61
	v_mov_b32_e32 v9, v8
	s_lshl_b64 s[64:65], s[62:63], 3
	s_delay_alu instid0(SALU_CYCLE_1)
	s_add_u32 s64, s44, s64
	s_addc_u32 s65, s45, s65
	global_store_b64 v8, v[8:9], s[64:65]
.LBB22_10:                              ;   in Loop: Header=BB22_7 Depth=1
	s_mov_b32 s37, -1
	s_mov_b32 s3, 0
	s_cmp_lt_i32 s62, s36
	s_mov_b32 s60, 0
	s_cbranch_scc1 .LBB22_12
; %bb.11:                               ;   in Loop: Header=BB22_7 Depth=1
	s_ashr_i32 s63, s62, 31
	s_mov_b32 s37, 0
	s_mov_b32 s60, -1
.LBB22_12:                              ;   in Loop: Header=BB22_7 Depth=1
	s_and_not1_b32 vcc_lo, exec_lo, s37
	s_cbranch_vccnz .LBB22_17
; %bb.13:                               ;   in Loop: Header=BB22_7 Depth=1
	s_ashr_i32 s63, s62, 31
	s_delay_alu instid0(SALU_CYCLE_1)
	s_lshl_b64 s[64:65], s[62:63], 3
	s_mov_b64 s[66:67], s[62:63]
	s_add_u32 s70, s10, s64
	s_addc_u32 s71, s74, s65
	s_add_u32 s64, s81, s64
	s_addc_u32 s65, s82, s65
	s_branch .LBB22_15
.LBB22_14:                              ;   in Loop: Header=BB22_15 Depth=2
	s_and_not1_b32 vcc_lo, exec_lo, s37
	s_cbranch_vccz .LBB22_18
.LBB22_15:                              ;   Parent Loop BB22_7 Depth=1
                                        ; =>  This Inner Loop Header: Depth=2
	s_clause 0x1
	global_load_b128 v[1:4], v8, s[64:65] offset:-8
	global_load_b64 v[32:33], v8, s[70:71]
	s_mov_b64 s[68:69], s[70:71]
	s_mov_b64 s[72:73], s[66:67]
                                        ; implicit-def: $sgpr66_sgpr67
                                        ; implicit-def: $sgpr70_sgpr71
	s_waitcnt vmcnt(1)
	v_cmp_gt_f64_e64 s3, 0x10000000, |v[1:2]|
	v_cmp_gt_f64_e64 s37, 0x10000000, |v[3:4]|
	s_delay_alu instid0(VALU_DEP_2) | instskip(NEXT) | instid1(VALU_DEP_2)
	v_cndmask_b32_e64 v9, 0, 1, s3
	v_cndmask_b32_e64 v16, 0, 1, s37
	s_and_b32 s3, s3, exec_lo
	s_cselect_b32 s3, 0xffffff80, 0
	s_and_b32 s37, s37, exec_lo
	v_lshlrev_b32_e32 v9, 8, v9
	v_lshlrev_b32_e32 v16, 8, v16
	s_cselect_b32 s37, 0xffffff80, 0
	s_delay_alu instid0(VALU_DEP_2) | instskip(NEXT) | instid1(VALU_DEP_2)
	v_ldexp_f64 v[1:2], |v[1:2]|, v9
	v_ldexp_f64 v[3:4], |v[3:4]|, v16
	s_delay_alu instid0(VALU_DEP_2) | instskip(NEXT) | instid1(VALU_DEP_1)
	v_rsq_f64_e32 v[16:17], v[1:2]
	v_rsq_f64_e32 v[18:19], v[3:4]
	v_cmp_class_f64_e64 vcc_lo, v[1:2], 0x260
	s_waitcnt_depctr 0xfff
	v_mul_f64 v[20:21], v[1:2], v[16:17]
	v_mul_f64 v[16:17], v[16:17], 0.5
	v_mul_f64 v[26:27], v[3:4], v[18:19]
	v_mul_f64 v[18:19], v[18:19], 0.5
	s_delay_alu instid0(VALU_DEP_3) | instskip(NEXT) | instid1(VALU_DEP_2)
	v_fma_f64 v[28:29], -v[16:17], v[20:21], 0.5
	v_fma_f64 v[30:31], -v[18:19], v[26:27], 0.5
	s_delay_alu instid0(VALU_DEP_2) | instskip(SKIP_1) | instid1(VALU_DEP_3)
	v_fma_f64 v[20:21], v[20:21], v[28:29], v[20:21]
	v_fma_f64 v[16:17], v[16:17], v[28:29], v[16:17]
	;; [unrolled: 1-line block ×4, first 2 shown]
	s_delay_alu instid0(VALU_DEP_4) | instskip(NEXT) | instid1(VALU_DEP_3)
	v_fma_f64 v[28:29], -v[20:21], v[20:21], v[1:2]
	v_fma_f64 v[30:31], -v[26:27], v[26:27], v[3:4]
	s_delay_alu instid0(VALU_DEP_2) | instskip(NEXT) | instid1(VALU_DEP_2)
	v_fma_f64 v[20:21], v[28:29], v[16:17], v[20:21]
	v_fma_f64 v[26:27], v[30:31], v[18:19], v[26:27]
	s_delay_alu instid0(VALU_DEP_2) | instskip(NEXT) | instid1(VALU_DEP_2)
	v_fma_f64 v[28:29], -v[20:21], v[20:21], v[1:2]
	v_fma_f64 v[30:31], -v[26:27], v[26:27], v[3:4]
	s_delay_alu instid0(VALU_DEP_2) | instskip(NEXT) | instid1(VALU_DEP_2)
	v_fma_f64 v[16:17], v[28:29], v[16:17], v[20:21]
	v_fma_f64 v[18:19], v[30:31], v[18:19], v[26:27]
	s_delay_alu instid0(VALU_DEP_2) | instskip(SKIP_1) | instid1(VALU_DEP_3)
	v_ldexp_f64 v[16:17], v[16:17], s3
	v_cmp_class_f64_e64 s3, v[3:4], 0x260
	v_ldexp_f64 v[18:19], v[18:19], s37
	s_delay_alu instid0(VALU_DEP_3) | instskip(NEXT) | instid1(VALU_DEP_2)
	v_dual_cndmask_b32 v2, v17, v2 :: v_dual_cndmask_b32 v1, v16, v1
	v_cndmask_b32_e64 v4, v19, v4, s3
	s_delay_alu instid0(VALU_DEP_3) | instskip(SKIP_1) | instid1(VALU_DEP_1)
	v_cndmask_b32_e64 v3, v18, v3, s3
	s_mov_b32 s3, -1
	v_mul_f64 v[1:2], v[1:2], v[3:4]
	s_delay_alu instid0(VALU_DEP_1) | instskip(SKIP_1) | instid1(VALU_DEP_1)
	v_mul_f64 v[1:2], v[1:2], s[24:25]
	s_waitcnt vmcnt(0)
	v_cmp_nle_f64_e64 s37, |v[32:33]|, v[1:2]
	s_delay_alu instid0(VALU_DEP_1)
	s_and_b32 vcc_lo, exec_lo, s37
	s_mov_b32 s37, -1
	s_cbranch_vccz .LBB22_14
; %bb.16:                               ;   in Loop: Header=BB22_15 Depth=2
	s_add_u32 s66, s72, 1
	s_addc_u32 s67, s73, 0
	s_add_u32 s70, s68, 8
	s_addc_u32 s71, s69, 0
	;; [unrolled: 2-line block ×3, first 2 shown]
	s_cmp_ge_i32 s66, s36
	s_mov_b32 s3, 0
	s_cselect_b32 s37, -1, 0
	s_branch .LBB22_14
.LBB22_17:                              ;   in Loop: Header=BB22_7 Depth=1
	s_mov_b32 s37, s62
	s_mov_b64 s[64:65], s[62:63]
	s_and_b32 vcc_lo, exec_lo, s60
	s_cbranch_vccnz .LBB22_21
	s_branch .LBB22_22
.LBB22_18:                              ;   in Loop: Header=BB22_7 Depth=1
	s_xor_b32 s3, s3, -1
                                        ; implicit-def: $sgpr64_sgpr65
	s_delay_alu instid0(SALU_CYCLE_1)
	s_and_b32 vcc_lo, exec_lo, s3
	s_mov_b32 s3, -1
	s_cbranch_vccz .LBB22_20
; %bb.19:                               ;   in Loop: Header=BB22_7 Depth=1
	s_ashr_i32 s37, s36, 31
	s_mov_b32 s60, -1
	s_mov_b32 s3, 0
	s_mov_b64 s[64:65], s[36:37]
.LBB22_20:                              ;   in Loop: Header=BB22_7 Depth=1
	v_dual_mov_b32 v16, s72 :: v_dual_mov_b32 v17, s73
	v_dual_mov_b32 v18, s68 :: v_dual_mov_b32 v19, s69
	;; [unrolled: 1-line block ×3, first 2 shown]
	s_mov_b32 s37, s36
	s_and_b32 vcc_lo, exec_lo, s60
	s_cbranch_vccz .LBB22_22
.LBB22_21:                              ;   in Loop: Header=BB22_7 Depth=1
	v_mov_b32_e32 v1, s37
	ds_store_b32 v8, v1 offset:20
.LBB22_22:                              ;   in Loop: Header=BB22_7 Depth=1
	v_dual_mov_b32 v1, s62 :: v_dual_mov_b32 v2, s63
	v_dual_mov_b32 v3, s64 :: v_dual_mov_b32 v4, s65
	v_mov_b32_e32 v28, s37
	s_and_not1_b32 vcc_lo, exec_lo, s3
	s_cbranch_vccnz .LBB22_24
; %bb.23:                               ;   in Loop: Header=BB22_7 Depth=1
	v_mov_b32_e32 v1, v20
	v_dual_mov_b32 v3, v16 :: v_dual_mov_b32 v4, v17
	v_dual_mov_b32 v9, v8 :: v_dual_mov_b32 v2, v21
	v_mov_b32_e32 v28, v16
	ds_store_b32 v8, v16 offset:20
	global_store_b64 v[18:19], v[8:9], off
.LBB22_24:                              ;   in Loop: Header=BB22_7 Depth=1
	s_delay_alu instid0(VALU_DEP_2) | instskip(SKIP_1) | instid1(VALU_DEP_2)
	v_lshlrev_b64 v[3:4], 3, v[3:4]
	v_lshlrev_b64 v[26:27], 3, v[1:2]
	v_add_co_u32 v1, vcc_lo, s18, v3
	s_delay_alu instid0(VALU_DEP_3) | instskip(NEXT) | instid1(VALU_DEP_3)
	v_add_co_ci_u32_e32 v2, vcc_lo, s19, v4, vcc_lo
	v_add_co_u32 v3, vcc_lo, s18, v26
	s_delay_alu instid0(VALU_DEP_4)
	v_add_co_ci_u32_e32 v4, vcc_lo, s19, v27, vcc_lo
	s_clause 0x1
	global_load_b64 v[1:2], v[1:2], off
	global_load_b64 v[3:4], v[3:4], off
	s_waitcnt vmcnt(0)
	v_cmp_lt_f64_e64 s37, |v[1:2]|, |v[3:4]|
	v_dual_mov_b32 v4, s62 :: v_dual_add_nc_u32 v3, 1, v28
	ds_store_2addr_b32 v8, v28, v28 offset0:8 offset1:10
	ds_store_b32 v8, v4 offset:16
	ds_store_b64 v8, v[3:4] offset:24
	s_and_saveexec_b32 s3, s37
	s_cbranch_execz .LBB22_26
; %bb.25:                               ;   in Loop: Header=BB22_7 Depth=1
	v_mov_b32_e32 v3, s62
	ds_store_2addr_b32 v8, v28, v3 offset0:4 offset1:8
.LBB22_26:                              ;   in Loop: Header=BB22_7 Depth=1
	s_or_b32 exec_lo, exec_lo, s3
	v_and_b32_e32 v2, 0x7fffffff, v2
	s_mov_b32 s37, exec_lo
	v_cmpx_lt_i32_e64 s62, v28
	s_cbranch_execz .LBB22_30
; %bb.27:                               ;   in Loop: Header=BB22_7 Depth=1
	v_add_co_u32 v3, vcc_lo, s79, v26
	v_add_co_ci_u32_e32 v4, vcc_lo, s80, v27, vcc_lo
	v_add_co_u32 v26, vcc_lo, s10, v26
	v_add_co_ci_u32_e32 v27, vcc_lo, s74, v27, vcc_lo
	s_mov_b32 s60, 0
	.p2align	6
.LBB22_28:                              ;   Parent Loop BB22_7 Depth=1
                                        ; =>  This Inner Loop Header: Depth=2
	global_load_b64 v[29:30], v[26:27], off
	global_load_b64 v[31:32], v[3:4], off
	v_max_f64 v[1:2], v[1:2], v[1:2]
	v_add_co_u32 v3, vcc_lo, v3, 8
	s_add_i32 s62, s62, 1
	v_add_co_ci_u32_e32 v4, vcc_lo, 0, v4, vcc_lo
	v_cmp_ge_i32_e32 vcc_lo, s62, v28
	v_add_co_u32 v26, s3, v26, 8
	s_delay_alu instid0(VALU_DEP_1)
	v_add_co_ci_u32_e64 v27, s3, 0, v27, s3
	s_or_b32 s60, vcc_lo, s60
	s_waitcnt vmcnt(1)
	v_max_f64 v[29:30], |v[29:30]|, |v[29:30]|
	s_waitcnt vmcnt(0)
	v_max_f64 v[31:32], |v[31:32]|, |v[31:32]|
	s_delay_alu instid0(VALU_DEP_1) | instskip(NEXT) | instid1(VALU_DEP_1)
	v_max_f64 v[29:30], v[31:32], v[29:30]
	v_max_f64 v[1:2], v[1:2], v[29:30]
	s_and_not1_b32 exec_lo, exec_lo, s60
	s_cbranch_execnz .LBB22_28
; %bb.29:                               ;   in Loop: Header=BB22_7 Depth=1
	s_or_b32 exec_lo, exec_lo, s60
.LBB22_30:                              ;   in Loop: Header=BB22_7 Depth=1
	s_delay_alu instid0(SALU_CYCLE_1)
	s_or_b32 exec_lo, exec_lo, s37
	ds_store_b64 v8, v[1:2] offset:8
.LBB22_31:                              ;   in Loop: Header=BB22_7 Depth=1
	s_or_b32 exec_lo, exec_lo, s5
	s_waitcnt lgkmcnt(0)
	s_waitcnt_vscnt null, 0x0
	s_barrier
	buffer_gl0_inv
	ds_load_b64 v[1:2], v8 offset:8
	ds_load_2addr_b32 v[3:4], v8 offset0:4 offset1:8
	s_waitcnt lgkmcnt(1)
	v_cmp_eq_f64_e32 vcc_lo, 0, v[1:2]
	s_waitcnt lgkmcnt(0)
	v_cmp_eq_u32_e64 s3, v4, v3
	s_delay_alu instid0(VALU_DEP_1) | instskip(NEXT) | instid1(SALU_CYCLE_1)
	s_or_b32 s3, s3, vcc_lo
	s_and_b32 vcc_lo, exec_lo, s3
	s_cbranch_vccnz .LBB22_133
; %bb.32:                               ;   in Loop: Header=BB22_7 Depth=1
	v_cmp_nlt_f64_e32 vcc_lo, s[40:41], v[1:2]
	s_mov_b32 s3, -1
	s_cbranch_vccz .LBB22_41
; %bb.33:                               ;   in Loop: Header=BB22_7 Depth=1
	v_cmp_ngt_f64_e32 vcc_lo, s[26:27], v[1:2]
	s_cbranch_vccnz .LBB22_40
; %bb.34:                               ;   in Loop: Header=BB22_7 Depth=1
	v_div_scale_f64 v[3:4], null, s[26:27], s[26:27], v[1:2]
	s_delay_alu instid0(VALU_DEP_1) | instskip(SKIP_2) | instid1(VALU_DEP_1)
	v_rcp_f64_e32 v[26:27], v[3:4]
	s_waitcnt_depctr 0xfff
	v_fma_f64 v[28:29], -v[3:4], v[26:27], 1.0
	v_fma_f64 v[26:27], v[26:27], v[28:29], v[26:27]
	s_delay_alu instid0(VALU_DEP_1) | instskip(NEXT) | instid1(VALU_DEP_1)
	v_fma_f64 v[28:29], -v[3:4], v[26:27], 1.0
	v_fma_f64 v[26:27], v[26:27], v[28:29], v[26:27]
	v_div_scale_f64 v[28:29], vcc_lo, v[1:2], s[26:27], v[1:2]
	s_delay_alu instid0(VALU_DEP_1) | instskip(NEXT) | instid1(VALU_DEP_1)
	v_mul_f64 v[30:31], v[28:29], v[26:27]
	v_fma_f64 v[3:4], -v[3:4], v[30:31], v[28:29]
	s_delay_alu instid0(VALU_DEP_1)
	v_div_fmas_f64 v[3:4], v[3:4], v[26:27], v[30:31]
	ds_load_2addr_b32 v[26:27], v8 offset0:7 offset1:10
	v_div_fixup_f64 v[3:4], v[3:4], s[26:27], v[1:2]
	s_and_saveexec_b32 s3, s4
	s_cbranch_execz .LBB22_36
; %bb.35:                               ;   in Loop: Header=BB22_7 Depth=1
	s_waitcnt lgkmcnt(0)
	v_ashrrev_i32_e32 v29, 31, v27
	v_mov_b32_e32 v28, v27
	s_delay_alu instid0(VALU_DEP_1) | instskip(NEXT) | instid1(VALU_DEP_1)
	v_lshlrev_b64 v[28:29], 3, v[28:29]
	v_add_co_u32 v28, vcc_lo, s18, v28
	s_delay_alu instid0(VALU_DEP_2)
	v_add_co_ci_u32_e32 v29, vcc_lo, s19, v29, vcc_lo
	global_load_b64 v[30:31], v[28:29], off
	s_waitcnt vmcnt(0)
	v_mul_f64 v[30:31], v[3:4], v[30:31]
	global_store_b64 v[28:29], v[30:31], off
.LBB22_36:                              ;   in Loop: Header=BB22_7 Depth=1
	s_or_b32 exec_lo, exec_lo, s3
	s_waitcnt lgkmcnt(0)
	v_add_nc_u32_e32 v28, v26, v6
	s_mov_b32 s5, exec_lo
	s_delay_alu instid0(VALU_DEP_1)
	v_cmpx_lt_i32_e64 v28, v27
	s_cbranch_execz .LBB22_39
; %bb.37:                               ;   in Loop: Header=BB22_7 Depth=1
	v_ashrrev_i32_e32 v29, 31, v28
	s_mov_b32 s37, 0
	s_delay_alu instid0(VALU_DEP_1)
	v_lshlrev_b64 v[29:30], 3, v[28:29]
	.p2align	6
.LBB22_38:                              ;   Parent Loop BB22_7 Depth=1
                                        ; =>  This Inner Loop Header: Depth=2
	s_delay_alu instid0(VALU_DEP_1) | instskip(NEXT) | instid1(VALU_DEP_2)
	v_add_co_u32 v31, vcc_lo, s18, v29
	v_add_co_ci_u32_e32 v32, vcc_lo, s19, v30, vcc_lo
	v_add_co_u32 v35, vcc_lo, s10, v29
	v_add_co_ci_u32_e32 v36, vcc_lo, s74, v30, vcc_lo
	global_load_b64 v[33:34], v[31:32], off
	v_add_nc_u32_e32 v28, s34, v28
	v_add_co_u32 v29, s3, v29, s50
	s_delay_alu instid0(VALU_DEP_1) | instskip(NEXT) | instid1(VALU_DEP_3)
	v_add_co_ci_u32_e64 v30, s3, s51, v30, s3
	v_cmp_ge_i32_e32 vcc_lo, v28, v27
	s_or_b32 s37, vcc_lo, s37
	s_waitcnt vmcnt(0)
	v_mul_f64 v[33:34], v[3:4], v[33:34]
	global_store_b64 v[31:32], v[33:34], off
	global_load_b64 v[31:32], v[35:36], off
	s_waitcnt vmcnt(0)
	v_mul_f64 v[31:32], v[3:4], v[31:32]
	global_store_b64 v[35:36], v[31:32], off
	s_and_not1_b32 exec_lo, exec_lo, s37
	s_cbranch_execnz .LBB22_38
.LBB22_39:                              ;   in Loop: Header=BB22_7 Depth=1
	s_or_b32 exec_lo, exec_lo, s5
.LBB22_40:                              ;   in Loop: Header=BB22_7 Depth=1
	s_mov_b32 s3, 0
.LBB22_41:                              ;   in Loop: Header=BB22_7 Depth=1
	s_delay_alu instid0(SALU_CYCLE_1)
	s_and_not1_b32 vcc_lo, exec_lo, s3
	s_cbranch_vccnz .LBB22_48
; %bb.42:                               ;   in Loop: Header=BB22_7 Depth=1
	v_div_scale_f64 v[3:4], null, s[40:41], s[40:41], v[1:2]
	s_delay_alu instid0(VALU_DEP_1) | instskip(SKIP_2) | instid1(VALU_DEP_1)
	v_rcp_f64_e32 v[26:27], v[3:4]
	s_waitcnt_depctr 0xfff
	v_fma_f64 v[28:29], -v[3:4], v[26:27], 1.0
	v_fma_f64 v[26:27], v[26:27], v[28:29], v[26:27]
	s_delay_alu instid0(VALU_DEP_1) | instskip(NEXT) | instid1(VALU_DEP_1)
	v_fma_f64 v[28:29], -v[3:4], v[26:27], 1.0
	v_fma_f64 v[26:27], v[26:27], v[28:29], v[26:27]
	v_div_scale_f64 v[28:29], vcc_lo, v[1:2], s[40:41], v[1:2]
	s_delay_alu instid0(VALU_DEP_1) | instskip(NEXT) | instid1(VALU_DEP_1)
	v_mul_f64 v[30:31], v[28:29], v[26:27]
	v_fma_f64 v[3:4], -v[3:4], v[30:31], v[28:29]
	s_delay_alu instid0(VALU_DEP_1) | instskip(NEXT) | instid1(VALU_DEP_1)
	v_div_fmas_f64 v[3:4], v[3:4], v[26:27], v[30:31]
	v_div_fixup_f64 v[1:2], v[3:4], s[40:41], v[1:2]
	ds_load_2addr_b32 v[3:4], v8 offset0:7 offset1:10
	s_and_saveexec_b32 s3, s4
	s_cbranch_execz .LBB22_44
; %bb.43:                               ;   in Loop: Header=BB22_7 Depth=1
	s_waitcnt lgkmcnt(0)
	v_ashrrev_i32_e32 v27, 31, v4
	v_mov_b32_e32 v26, v4
	s_delay_alu instid0(VALU_DEP_1) | instskip(NEXT) | instid1(VALU_DEP_1)
	v_lshlrev_b64 v[26:27], 3, v[26:27]
	v_add_co_u32 v26, vcc_lo, s18, v26
	s_delay_alu instid0(VALU_DEP_2)
	v_add_co_ci_u32_e32 v27, vcc_lo, s19, v27, vcc_lo
	global_load_b64 v[28:29], v[26:27], off
	s_waitcnt vmcnt(0)
	v_mul_f64 v[28:29], v[1:2], v[28:29]
	global_store_b64 v[26:27], v[28:29], off
.LBB22_44:                              ;   in Loop: Header=BB22_7 Depth=1
	s_or_b32 exec_lo, exec_lo, s3
	s_waitcnt lgkmcnt(0)
	v_add_nc_u32_e32 v26, v3, v6
	s_mov_b32 s5, exec_lo
	s_delay_alu instid0(VALU_DEP_1)
	v_cmpx_lt_i32_e64 v26, v4
	s_cbranch_execz .LBB22_47
; %bb.45:                               ;   in Loop: Header=BB22_7 Depth=1
	v_ashrrev_i32_e32 v27, 31, v26
	s_mov_b32 s37, 0
	s_delay_alu instid0(VALU_DEP_1)
	v_lshlrev_b64 v[27:28], 3, v[26:27]
	.p2align	6
.LBB22_46:                              ;   Parent Loop BB22_7 Depth=1
                                        ; =>  This Inner Loop Header: Depth=2
	s_delay_alu instid0(VALU_DEP_1) | instskip(NEXT) | instid1(VALU_DEP_2)
	v_add_co_u32 v29, vcc_lo, s18, v27
	v_add_co_ci_u32_e32 v30, vcc_lo, s19, v28, vcc_lo
	v_add_co_u32 v33, vcc_lo, s10, v27
	v_add_co_ci_u32_e32 v34, vcc_lo, s74, v28, vcc_lo
	global_load_b64 v[31:32], v[29:30], off
	v_add_nc_u32_e32 v26, s34, v26
	v_add_co_u32 v27, s3, v27, s50
	s_delay_alu instid0(VALU_DEP_1) | instskip(NEXT) | instid1(VALU_DEP_3)
	v_add_co_ci_u32_e64 v28, s3, s51, v28, s3
	v_cmp_ge_i32_e32 vcc_lo, v26, v4
	s_or_b32 s37, vcc_lo, s37
	s_waitcnt vmcnt(0)
	v_mul_f64 v[31:32], v[1:2], v[31:32]
	global_store_b64 v[29:30], v[31:32], off
	global_load_b64 v[29:30], v[33:34], off
	s_waitcnt vmcnt(0)
	v_mul_f64 v[29:30], v[1:2], v[29:30]
	global_store_b64 v[33:34], v[29:30], off
	s_and_not1_b32 exec_lo, exec_lo, s37
	s_cbranch_execnz .LBB22_46
.LBB22_47:                              ;   in Loop: Header=BB22_7 Depth=1
	s_or_b32 exec_lo, exec_lo, s5
.LBB22_48:                              ;   in Loop: Header=BB22_7 Depth=1
	s_waitcnt_vscnt null, 0x0
	s_barrier
	buffer_gl0_inv
	ds_load_b64 v[28:29], v8 offset:32
	ds_load_b32 v26, v8 offset:16
	s_waitcnt lgkmcnt(1)
	v_cmp_gt_i32_e64 s3, s33, v29
	s_waitcnt lgkmcnt(0)
	v_cmp_lt_i32_e32 vcc_lo, v28, v26
	s_delay_alu instid0(VALU_DEP_2) | instskip(NEXT) | instid1(VALU_DEP_1)
	v_cndmask_b32_e64 v1, 0, 1, s3
	v_cmp_ne_u32_e64 s5, 1, v1
	s_cbranch_vccnz .LBB22_134
; %bb.49:                               ;   in Loop: Header=BB22_7 Depth=1
	v_dual_mov_b32 v33, v25 :: v_dual_mov_b32 v32, v24
	v_dual_mov_b32 v31, v23 :: v_dual_mov_b32 v30, v22
	;; [unrolled: 1-line block ×4, first 2 shown]
	s_and_b32 vcc_lo, exec_lo, s5
	s_cbranch_vccz .LBB22_53
.LBB22_50:                              ;   in Loop: Header=BB22_7 Depth=1
	s_cbranch_execz .LBB22_137
	s_branch .LBB22_219
.LBB22_51:                              ;   in Loop: Header=BB22_53 Depth=2
	s_or_b32 exec_lo, exec_lo, s37
	s_waitcnt_vscnt null, 0x0
	s_barrier
	buffer_gl0_inv
	ds_load_b32 v34, v8 offset:16
.LBB22_52:                              ;   in Loop: Header=BB22_53 Depth=2
	ds_load_b64 v[38:39], v8 offset:32
	s_waitcnt lgkmcnt(0)
	v_cmp_le_i32_e32 vcc_lo, v34, v38
	v_cmp_gt_i32_e64 s5, s33, v39
	s_delay_alu instid0(VALU_DEP_1) | instskip(NEXT) | instid1(SALU_CYCLE_1)
	s_and_b32 s5, vcc_lo, s5
	s_and_not1_b32 vcc_lo, exec_lo, s5
	s_cbranch_vccnz .LBB22_50
.LBB22_53:                              ;   Parent Loop BB22_7 Depth=1
                                        ; =>  This Loop Header: Depth=2
                                        ;       Child Loop BB22_61 Depth 3
                                        ;       Child Loop BB22_80 Depth 3
	;; [unrolled: 1-line block ×3, first 2 shown]
                                        ;         Child Loop BB22_131 Depth 4
	s_and_saveexec_b32 s37, s4
	s_cbranch_execz .LBB22_126
; %bb.54:                               ;   in Loop: Header=BB22_53 Depth=2
	v_cmp_lt_i32_e32 vcc_lo, v34, v38
	s_mov_b32 s5, 0
	s_cbranch_vccnz .LBB22_58
; %bb.55:                               ;   in Loop: Header=BB22_53 Depth=2
	v_ashrrev_i32_e32 v35, 31, v34
	v_mov_b32_e32 v2, v34
	s_mov_b32 s60, -1
	s_delay_alu instid0(VALU_DEP_2)
	v_mov_b32_e32 v3, v35
	v_mov_b32_e32 v1, v34
	s_cbranch_execz .LBB22_59
; %bb.56:                               ;   in Loop: Header=BB22_53 Depth=2
	s_and_b32 vcc_lo, exec_lo, s60
	s_cbranch_vccz .LBB22_64
.LBB22_57:                              ;   in Loop: Header=BB22_53 Depth=2
	ds_store_2addr_b32 v8, v1, v34 offset0:5 offset1:7
	s_cbranch_execz .LBB22_65
	s_branch .LBB22_66
.LBB22_58:                              ;   in Loop: Header=BB22_53 Depth=2
	s_mov_b32 s60, 0
                                        ; implicit-def: $vgpr2_vgpr3
	v_mov_b32_e32 v1, v34
.LBB22_59:                              ;   in Loop: Header=BB22_53 Depth=2
	v_ashrrev_i32_e32 v35, 31, v34
	v_mov_b32_e32 v9, v34
	s_delay_alu instid0(VALU_DEP_2) | instskip(NEXT) | instid1(VALU_DEP_1)
	v_lshlrev_b64 v[1:2], 3, v[34:35]
	v_add_co_u32 v3, vcc_lo, s10, v1
	s_delay_alu instid0(VALU_DEP_2)
	v_add_co_ci_u32_e32 v4, vcc_lo, s74, v2, vcc_lo
	v_add_co_u32 v1, vcc_lo, s79, v1
	v_add_co_ci_u32_e32 v2, vcc_lo, s80, v2, vcc_lo
	s_branch .LBB22_61
	.p2align	6
.LBB22_60:                              ;   in Loop: Header=BB22_61 Depth=3
	v_add_nc_u32_e32 v9, 1, v27
	v_add_co_u32 v3, vcc_lo, v30, 8
	v_add_co_ci_u32_e32 v4, vcc_lo, 0, v31, vcc_lo
	v_add_co_u32 v1, vcc_lo, v1, 8
	v_add_co_ci_u32_e32 v2, vcc_lo, 0, v2, vcc_lo
	v_cmp_ge_i32_e64 s60, v9, v38
	s_mov_b32 s5, 0
	s_delay_alu instid0(VALU_DEP_1)
	s_and_not1_b32 vcc_lo, exec_lo, s60
	s_cbranch_vccz .LBB22_63
.LBB22_61:                              ;   Parent Loop BB22_7 Depth=1
                                        ;     Parent Loop BB22_53 Depth=2
                                        ; =>    This Inner Loop Header: Depth=3
	global_load_b128 v[40:43], v[1:2], off
	v_dual_mov_b32 v31, v4 :: v_dual_mov_b32 v30, v3
	global_load_b64 v[3:4], v[3:4], off
	v_mov_b32_e32 v27, v9
	s_waitcnt vmcnt(1)
	v_mul_f64 v[32:33], v[40:41], v[42:43]
	s_waitcnt vmcnt(0)
	v_mul_f64 v[3:4], v[3:4], v[3:4]
	s_delay_alu instid0(VALU_DEP_2) | instskip(NEXT) | instid1(VALU_DEP_1)
	v_mul_f64 v[32:33], v[10:11], |v[32:33]|
	v_cmp_le_f64_e64 s5, |v[3:4]|, v[32:33]
	s_delay_alu instid0(VALU_DEP_1)
	s_and_b32 vcc_lo, exec_lo, s5
	s_cbranch_vccz .LBB22_60
; %bb.62:                               ;   in Loop: Header=BB22_53 Depth=2
	s_mov_b32 s5, -1
                                        ; implicit-def: $vgpr9
                                        ; implicit-def: $vgpr3_vgpr4
                                        ; implicit-def: $vgpr1_vgpr2
.LBB22_63:                              ;   in Loop: Header=BB22_53 Depth=2
	v_dual_mov_b32 v32, v34 :: v_dual_mov_b32 v33, v35
	v_mov_b32_e32 v1, v38
	v_dual_mov_b32 v2, v34 :: v_dual_mov_b32 v3, v35
	s_xor_b32 s60, s5, -1
	s_mov_b32 s5, -1
	s_and_b32 vcc_lo, exec_lo, s60
	s_cbranch_vccnz .LBB22_57
.LBB22_64:                              ;   in Loop: Header=BB22_53 Depth=2
                                        ; implicit-def: $vgpr1
                                        ; implicit-def: $vgpr2_vgpr3
	s_and_not1_b32 vcc_lo, exec_lo, s5
	s_cbranch_vccnz .LBB22_66
.LBB22_65:                              ;   in Loop: Header=BB22_53 Depth=2
	v_mov_b32_e32 v9, v8
	v_dual_mov_b32 v2, v32 :: v_dual_mov_b32 v3, v33
	v_mov_b32_e32 v1, v27
	ds_store_2addr_b32 v8, v27, v34 offset0:5 offset1:7
	global_store_b64 v[30:31], v[8:9], off
.LBB22_66:                              ;   in Loop: Header=BB22_53 Depth=2
	v_lshlrev_b64 v[37:38], 3, v[2:3]
	v_add_nc_u32_e32 v2, 1, v34
	s_mov_b32 s5, exec_lo
	s_delay_alu instid0(VALU_DEP_2) | instskip(NEXT) | instid1(VALU_DEP_3)
	v_add_co_u32 v35, vcc_lo, s18, v37
	v_add_co_ci_u32_e32 v36, vcc_lo, s19, v38, vcc_lo
	global_load_b64 v[45:46], v[35:36], off
	s_waitcnt vmcnt(0)
	ds_store_b64 v8, v[45:46]
	v_cmpx_ne_u32_e64 v1, v34
	s_xor_b32 s60, exec_lo, s5
	s_cbranch_execz .LBB22_123
; %bb.67:                               ;   in Loop: Header=BB22_53 Depth=2
	s_mov_b32 s5, exec_lo
	v_cmpx_ne_u32_e64 v1, v2
	s_xor_b32 s5, exec_lo, s5
	s_cbranch_execz .LBB22_95
; %bb.68:                               ;   in Loop: Header=BB22_53 Depth=2
	v_add_co_u32 v3, vcc_lo, s10, v37
	v_add_co_ci_u32_e32 v4, vcc_lo, s74, v38, vcc_lo
	s_mov_b32 s70, exec_lo
	global_load_b64 v[37:38], v[35:36], off offset:8
	global_load_b64 v[40:41], v[3:4], off
	s_waitcnt vmcnt(1)
	v_add_f64 v[37:38], v[37:38], -v[45:46]
	s_waitcnt vmcnt(0)
	v_add_f64 v[42:43], v[40:41], v[40:41]
	s_delay_alu instid0(VALU_DEP_1) | instskip(SKIP_1) | instid1(VALU_DEP_2)
	v_div_scale_f64 v[47:48], null, v[42:43], v[42:43], v[37:38]
	v_div_scale_f64 v[53:54], vcc_lo, v[37:38], v[42:43], v[37:38]
	v_rcp_f64_e32 v[49:50], v[47:48]
	s_waitcnt_depctr 0xfff
	v_fma_f64 v[51:52], -v[47:48], v[49:50], 1.0
	s_delay_alu instid0(VALU_DEP_1) | instskip(NEXT) | instid1(VALU_DEP_1)
	v_fma_f64 v[49:50], v[49:50], v[51:52], v[49:50]
	v_fma_f64 v[51:52], -v[47:48], v[49:50], 1.0
	s_delay_alu instid0(VALU_DEP_1) | instskip(NEXT) | instid1(VALU_DEP_1)
	v_fma_f64 v[49:50], v[49:50], v[51:52], v[49:50]
	v_mul_f64 v[51:52], v[53:54], v[49:50]
	s_delay_alu instid0(VALU_DEP_1) | instskip(NEXT) | instid1(VALU_DEP_1)
	v_fma_f64 v[47:48], -v[47:48], v[51:52], v[53:54]
	v_div_fmas_f64 v[47:48], v[47:48], v[49:50], v[51:52]
	s_delay_alu instid0(VALU_DEP_1) | instskip(NEXT) | instid1(VALU_DEP_1)
	v_div_fixup_f64 v[37:38], v[47:48], v[42:43], v[37:38]
	v_fma_f64 v[42:43], v[37:38], v[37:38], 1.0
	s_delay_alu instid0(VALU_DEP_1) | instskip(SKIP_1) | instid1(VALU_DEP_1)
	v_cmp_gt_f64_e32 vcc_lo, 0x10000000, v[42:43]
	v_cndmask_b32_e64 v2, 0, 1, vcc_lo
	v_lshlrev_b32_e32 v2, 8, v2
	s_delay_alu instid0(VALU_DEP_1) | instskip(SKIP_1) | instid1(VALU_DEP_2)
	v_ldexp_f64 v[42:43], v[42:43], v2
	v_cndmask_b32_e64 v2, 0, 0xffffff80, vcc_lo
	v_rsq_f64_e32 v[47:48], v[42:43]
	v_cmp_class_f64_e64 vcc_lo, v[42:43], 0x260
	s_waitcnt_depctr 0xfff
	v_mul_f64 v[49:50], v[42:43], v[47:48]
	v_mul_f64 v[47:48], v[47:48], 0.5
	s_delay_alu instid0(VALU_DEP_1) | instskip(NEXT) | instid1(VALU_DEP_1)
	v_fma_f64 v[51:52], -v[47:48], v[49:50], 0.5
	v_fma_f64 v[49:50], v[49:50], v[51:52], v[49:50]
	v_fma_f64 v[47:48], v[47:48], v[51:52], v[47:48]
	s_delay_alu instid0(VALU_DEP_2) | instskip(NEXT) | instid1(VALU_DEP_1)
	v_fma_f64 v[51:52], -v[49:50], v[49:50], v[42:43]
	v_fma_f64 v[49:50], v[51:52], v[47:48], v[49:50]
	s_delay_alu instid0(VALU_DEP_1) | instskip(NEXT) | instid1(VALU_DEP_1)
	v_fma_f64 v[51:52], -v[49:50], v[49:50], v[42:43]
	v_fma_f64 v[47:48], v[51:52], v[47:48], v[49:50]
	s_delay_alu instid0(VALU_DEP_1) | instskip(NEXT) | instid1(VALU_DEP_1)
	v_ldexp_f64 v[47:48], v[47:48], v2
	v_cndmask_b32_e32 v2, v48, v43, vcc_lo
	s_delay_alu instid0(VALU_DEP_2) | instskip(SKIP_1) | instid1(VALU_DEP_3)
	v_cndmask_b32_e32 v42, v47, v42, vcc_lo
	v_cmp_nle_f64_e32 vcc_lo, 0, v[37:38]
	v_and_b32_e32 v9, 0x7fffffff, v2
	v_or_b32_e32 v2, 0x80000000, v2
	s_delay_alu instid0(VALU_DEP_1) | instskip(SKIP_2) | instid1(VALU_DEP_2)
	v_cndmask_b32_e32 v43, v9, v2, vcc_lo
	v_ashrrev_i32_e32 v2, 31, v1
	v_mov_b32_e32 v9, v8
	v_lshlrev_b64 v[47:48], 3, v[1:2]
	v_add_nc_u32_e32 v2, 1, v39
	v_add_f64 v[37:38], v[37:38], v[42:43]
	s_delay_alu instid0(VALU_DEP_3) | instskip(NEXT) | instid1(VALU_DEP_4)
	v_add_co_u32 v43, vcc_lo, s18, v47
	v_add_co_ci_u32_e32 v44, vcc_lo, s19, v48, vcc_lo
	global_load_b64 v[49:50], v[43:44], off
	ds_store_b32 v8, v2 offset:36
	ds_store_b64 v8, v[8:9]
	v_div_scale_f64 v[51:52], null, v[37:38], v[37:38], v[40:41]
	s_delay_alu instid0(VALU_DEP_1) | instskip(SKIP_2) | instid1(VALU_DEP_1)
	v_rcp_f64_e32 v[53:54], v[51:52]
	s_waitcnt_depctr 0xfff
	v_fma_f64 v[55:56], -v[51:52], v[53:54], 1.0
	v_fma_f64 v[53:54], v[53:54], v[55:56], v[53:54]
	s_delay_alu instid0(VALU_DEP_1) | instskip(NEXT) | instid1(VALU_DEP_1)
	v_fma_f64 v[55:56], -v[51:52], v[53:54], 1.0
	v_fma_f64 v[53:54], v[53:54], v[55:56], v[53:54]
	v_div_scale_f64 v[55:56], vcc_lo, v[40:41], v[37:38], v[40:41]
	s_delay_alu instid0(VALU_DEP_1) | instskip(NEXT) | instid1(VALU_DEP_1)
	v_mul_f64 v[60:61], v[55:56], v[53:54]
	v_fma_f64 v[51:52], -v[51:52], v[60:61], v[55:56]
	s_delay_alu instid0(VALU_DEP_1) | instskip(SKIP_2) | instid1(VALU_DEP_2)
	v_div_fmas_f64 v[51:52], v[51:52], v[53:54], v[60:61]
	s_waitcnt vmcnt(0)
	v_add_f64 v[53:54], v[49:50], -v[45:46]
	v_div_fixup_f64 v[37:38], v[51:52], v[37:38], v[40:41]
	v_mov_b32_e32 v39, 0
	v_mov_b32_e32 v40, 0
	s_delay_alu instid0(VALU_DEP_3)
	v_add_f64 v[37:38], v[53:54], v[37:38]
	v_cmpx_gt_i32_e64 v1, v34
	s_cbranch_execz .LBB22_94
; %bb.69:                               ;   in Loop: Header=BB22_53 Depth=2
	v_add_co_u32 v39, vcc_lo, s44, v47
	v_add_co_ci_u32_e32 v40, vcc_lo, s45, v48, vcc_lo
	v_mov_b32_e32 v41, 0
	v_dual_mov_b32 v42, 0x3ff00000 :: v_dual_mov_b32 v53, 0
	global_load_b64 v[45:46], v[39:40], off
	v_mov_b32_e32 v54, 0
	s_mov_b32 s62, exec_lo
	s_waitcnt vmcnt(0)
	v_cmpx_neq_f64_e32 0, v[45:46]
	s_cbranch_execz .LBB22_77
; %bb.70:                               ;   in Loop: Header=BB22_53 Depth=2
	v_mov_b32_e32 v53, 0
	v_dual_mov_b32 v54, 0x3ff00000 :: v_dual_mov_b32 v41, 0
	v_mov_b32_e32 v42, 0
	s_mov_b32 s63, exec_lo
	v_cmpx_neq_f64_e32 0, v[37:38]
	s_cbranch_execz .LBB22_76
; %bb.71:                               ;   in Loop: Header=BB22_53 Depth=2
	v_cmp_ngt_f64_e64 s64, |v[45:46]|, |v[37:38]|
                                        ; implicit-def: $vgpr53_vgpr54
                                        ; implicit-def: $vgpr41_vgpr42
	s_delay_alu instid0(VALU_DEP_1) | instskip(NEXT) | instid1(SALU_CYCLE_1)
	s_and_saveexec_b32 s65, s64
	s_xor_b32 s64, exec_lo, s65
	s_cbranch_execz .LBB22_73
; %bb.72:                               ;   in Loop: Header=BB22_53 Depth=2
	v_div_scale_f64 v[39:40], null, v[37:38], v[37:38], -v[45:46]
	v_div_scale_f64 v[53:54], vcc_lo, -v[45:46], v[37:38], -v[45:46]
	s_delay_alu instid0(VALU_DEP_2) | instskip(SKIP_2) | instid1(VALU_DEP_1)
	v_rcp_f64_e32 v[41:42], v[39:40]
	s_waitcnt_depctr 0xfff
	v_fma_f64 v[51:52], -v[39:40], v[41:42], 1.0
	v_fma_f64 v[41:42], v[41:42], v[51:52], v[41:42]
	s_delay_alu instid0(VALU_DEP_1) | instskip(NEXT) | instid1(VALU_DEP_1)
	v_fma_f64 v[51:52], -v[39:40], v[41:42], 1.0
	v_fma_f64 v[41:42], v[41:42], v[51:52], v[41:42]
	s_delay_alu instid0(VALU_DEP_1) | instskip(NEXT) | instid1(VALU_DEP_1)
	v_mul_f64 v[51:52], v[53:54], v[41:42]
	v_fma_f64 v[39:40], -v[39:40], v[51:52], v[53:54]
	s_delay_alu instid0(VALU_DEP_1) | instskip(NEXT) | instid1(VALU_DEP_1)
	v_div_fmas_f64 v[39:40], v[39:40], v[41:42], v[51:52]
	v_div_fixup_f64 v[37:38], v[39:40], v[37:38], -v[45:46]
	s_delay_alu instid0(VALU_DEP_1) | instskip(NEXT) | instid1(VALU_DEP_1)
	v_fma_f64 v[39:40], v[37:38], v[37:38], 1.0
	v_cmp_gt_f64_e32 vcc_lo, 0x10000000, v[39:40]
	v_cndmask_b32_e64 v2, 0, 1, vcc_lo
	s_delay_alu instid0(VALU_DEP_1) | instskip(NEXT) | instid1(VALU_DEP_1)
	v_lshlrev_b32_e32 v2, 8, v2
	v_ldexp_f64 v[39:40], v[39:40], v2
	v_cndmask_b32_e64 v2, 0, 0xffffff80, vcc_lo
	s_delay_alu instid0(VALU_DEP_2) | instskip(SKIP_4) | instid1(VALU_DEP_1)
	v_rsq_f64_e32 v[41:42], v[39:40]
	v_cmp_class_f64_e64 vcc_lo, v[39:40], 0x260
	s_waitcnt_depctr 0xfff
	v_mul_f64 v[51:52], v[39:40], v[41:42]
	v_mul_f64 v[41:42], v[41:42], 0.5
	v_fma_f64 v[53:54], -v[41:42], v[51:52], 0.5
	s_delay_alu instid0(VALU_DEP_1) | instskip(SKIP_1) | instid1(VALU_DEP_2)
	v_fma_f64 v[51:52], v[51:52], v[53:54], v[51:52]
	v_fma_f64 v[41:42], v[41:42], v[53:54], v[41:42]
	v_fma_f64 v[53:54], -v[51:52], v[51:52], v[39:40]
	s_delay_alu instid0(VALU_DEP_1) | instskip(NEXT) | instid1(VALU_DEP_1)
	v_fma_f64 v[51:52], v[53:54], v[41:42], v[51:52]
	v_fma_f64 v[53:54], -v[51:52], v[51:52], v[39:40]
	s_delay_alu instid0(VALU_DEP_1) | instskip(NEXT) | instid1(VALU_DEP_1)
	v_fma_f64 v[41:42], v[53:54], v[41:42], v[51:52]
	v_ldexp_f64 v[41:42], v[41:42], v2
	s_delay_alu instid0(VALU_DEP_1) | instskip(NEXT) | instid1(VALU_DEP_1)
	v_dual_cndmask_b32 v39, v41, v39 :: v_dual_cndmask_b32 v40, v42, v40
	v_div_scale_f64 v[41:42], null, v[39:40], v[39:40], 1.0
	s_delay_alu instid0(VALU_DEP_1) | instskip(SKIP_2) | instid1(VALU_DEP_1)
	v_rcp_f64_e32 v[51:52], v[41:42]
	s_waitcnt_depctr 0xfff
	v_fma_f64 v[53:54], -v[41:42], v[51:52], 1.0
	v_fma_f64 v[51:52], v[51:52], v[53:54], v[51:52]
	s_delay_alu instid0(VALU_DEP_1) | instskip(NEXT) | instid1(VALU_DEP_1)
	v_fma_f64 v[53:54], -v[41:42], v[51:52], 1.0
	v_fma_f64 v[51:52], v[51:52], v[53:54], v[51:52]
	v_div_scale_f64 v[53:54], vcc_lo, 1.0, v[39:40], 1.0
	s_delay_alu instid0(VALU_DEP_1) | instskip(NEXT) | instid1(VALU_DEP_1)
	v_mul_f64 v[55:56], v[53:54], v[51:52]
	v_fma_f64 v[41:42], -v[41:42], v[55:56], v[53:54]
	s_delay_alu instid0(VALU_DEP_1) | instskip(NEXT) | instid1(VALU_DEP_1)
	v_div_fmas_f64 v[41:42], v[41:42], v[51:52], v[55:56]
	v_div_fixup_f64 v[41:42], v[41:42], v[39:40], 1.0
	s_delay_alu instid0(VALU_DEP_1)
	v_mul_f64 v[53:54], v[37:38], v[41:42]
                                        ; implicit-def: $vgpr37_vgpr38
.LBB22_73:                              ;   in Loop: Header=BB22_53 Depth=2
	s_and_not1_saveexec_b32 s64, s64
	s_cbranch_execz .LBB22_75
; %bb.74:                               ;   in Loop: Header=BB22_53 Depth=2
	v_div_scale_f64 v[39:40], null, v[45:46], v[45:46], -v[37:38]
	v_div_scale_f64 v[53:54], vcc_lo, -v[37:38], v[45:46], -v[37:38]
	s_delay_alu instid0(VALU_DEP_2) | instskip(SKIP_2) | instid1(VALU_DEP_1)
	v_rcp_f64_e32 v[41:42], v[39:40]
	s_waitcnt_depctr 0xfff
	v_fma_f64 v[51:52], -v[39:40], v[41:42], 1.0
	v_fma_f64 v[41:42], v[41:42], v[51:52], v[41:42]
	s_delay_alu instid0(VALU_DEP_1) | instskip(NEXT) | instid1(VALU_DEP_1)
	v_fma_f64 v[51:52], -v[39:40], v[41:42], 1.0
	v_fma_f64 v[41:42], v[41:42], v[51:52], v[41:42]
	s_delay_alu instid0(VALU_DEP_1) | instskip(NEXT) | instid1(VALU_DEP_1)
	v_mul_f64 v[51:52], v[53:54], v[41:42]
	v_fma_f64 v[39:40], -v[39:40], v[51:52], v[53:54]
	s_delay_alu instid0(VALU_DEP_1) | instskip(NEXT) | instid1(VALU_DEP_1)
	v_div_fmas_f64 v[39:40], v[39:40], v[41:42], v[51:52]
	v_div_fixup_f64 v[37:38], v[39:40], v[45:46], -v[37:38]
	s_delay_alu instid0(VALU_DEP_1) | instskip(NEXT) | instid1(VALU_DEP_1)
	v_fma_f64 v[39:40], v[37:38], v[37:38], 1.0
	v_cmp_gt_f64_e32 vcc_lo, 0x10000000, v[39:40]
	v_cndmask_b32_e64 v2, 0, 1, vcc_lo
	s_delay_alu instid0(VALU_DEP_1) | instskip(NEXT) | instid1(VALU_DEP_1)
	v_lshlrev_b32_e32 v2, 8, v2
	v_ldexp_f64 v[39:40], v[39:40], v2
	v_cndmask_b32_e64 v2, 0, 0xffffff80, vcc_lo
	s_delay_alu instid0(VALU_DEP_2) | instskip(SKIP_4) | instid1(VALU_DEP_1)
	v_rsq_f64_e32 v[41:42], v[39:40]
	v_cmp_class_f64_e64 vcc_lo, v[39:40], 0x260
	s_waitcnt_depctr 0xfff
	v_mul_f64 v[51:52], v[39:40], v[41:42]
	v_mul_f64 v[41:42], v[41:42], 0.5
	v_fma_f64 v[53:54], -v[41:42], v[51:52], 0.5
	s_delay_alu instid0(VALU_DEP_1) | instskip(SKIP_1) | instid1(VALU_DEP_2)
	v_fma_f64 v[51:52], v[51:52], v[53:54], v[51:52]
	v_fma_f64 v[41:42], v[41:42], v[53:54], v[41:42]
	v_fma_f64 v[53:54], -v[51:52], v[51:52], v[39:40]
	s_delay_alu instid0(VALU_DEP_1) | instskip(NEXT) | instid1(VALU_DEP_1)
	v_fma_f64 v[51:52], v[53:54], v[41:42], v[51:52]
	v_fma_f64 v[53:54], -v[51:52], v[51:52], v[39:40]
	s_delay_alu instid0(VALU_DEP_1) | instskip(NEXT) | instid1(VALU_DEP_1)
	v_fma_f64 v[41:42], v[53:54], v[41:42], v[51:52]
	v_ldexp_f64 v[41:42], v[41:42], v2
	s_delay_alu instid0(VALU_DEP_1) | instskip(NEXT) | instid1(VALU_DEP_1)
	v_dual_cndmask_b32 v39, v41, v39 :: v_dual_cndmask_b32 v40, v42, v40
	v_div_scale_f64 v[41:42], null, v[39:40], v[39:40], 1.0
	s_delay_alu instid0(VALU_DEP_1) | instskip(SKIP_2) | instid1(VALU_DEP_1)
	v_rcp_f64_e32 v[51:52], v[41:42]
	s_waitcnt_depctr 0xfff
	v_fma_f64 v[53:54], -v[41:42], v[51:52], 1.0
	v_fma_f64 v[51:52], v[51:52], v[53:54], v[51:52]
	s_delay_alu instid0(VALU_DEP_1) | instskip(NEXT) | instid1(VALU_DEP_1)
	v_fma_f64 v[53:54], -v[41:42], v[51:52], 1.0
	v_fma_f64 v[51:52], v[51:52], v[53:54], v[51:52]
	v_div_scale_f64 v[53:54], vcc_lo, 1.0, v[39:40], 1.0
	s_delay_alu instid0(VALU_DEP_1) | instskip(NEXT) | instid1(VALU_DEP_1)
	v_mul_f64 v[55:56], v[53:54], v[51:52]
	v_fma_f64 v[41:42], -v[41:42], v[55:56], v[53:54]
	s_delay_alu instid0(VALU_DEP_1) | instskip(NEXT) | instid1(VALU_DEP_1)
	v_div_fmas_f64 v[41:42], v[41:42], v[51:52], v[55:56]
	v_div_fixup_f64 v[53:54], v[41:42], v[39:40], 1.0
	s_delay_alu instid0(VALU_DEP_1)
	v_mul_f64 v[41:42], v[37:38], v[53:54]
.LBB22_75:                              ;   in Loop: Header=BB22_53 Depth=2
	s_or_b32 exec_lo, exec_lo, s64
.LBB22_76:                              ;   in Loop: Header=BB22_53 Depth=2
	s_delay_alu instid0(SALU_CYCLE_1)
	s_or_b32 exec_lo, exec_lo, s63
.LBB22_77:                              ;   in Loop: Header=BB22_53 Depth=2
	s_delay_alu instid0(SALU_CYCLE_1)
	s_or_b32 exec_lo, exec_lo, s62
	global_load_b64 v[37:38], v[43:44], off offset:-8
	v_add_f64 v[39:40], v[41:42], v[41:42]
	s_mov_b32 s71, exec_lo
	s_waitcnt vmcnt(0)
	v_add_f64 v[37:38], v[37:38], -v[49:50]
	s_delay_alu instid0(VALU_DEP_1) | instskip(NEXT) | instid1(VALU_DEP_1)
	v_mul_f64 v[37:38], v[53:54], v[37:38]
	v_fma_f64 v[37:38], v[45:46], v[39:40], -v[37:38]
	s_delay_alu instid0(VALU_DEP_1)
	v_mul_f64 v[39:40], v[37:38], -v[53:54]
	v_fma_f64 v[49:50], v[37:38], -v[53:54], v[49:50]
	v_fma_f64 v[37:38], v[41:42], v[37:38], -v[45:46]
	v_add_co_u32 v46, vcc_lo, s46, v47
	v_add_co_ci_u32_e32 v47, vcc_lo, s47, v48, vcc_lo
	v_add_nc_u32_e32 v45, -1, v1
	s_delay_alu instid0(VALU_DEP_3) | instskip(NEXT) | instid1(VALU_DEP_3)
	v_add_co_u32 v51, vcc_lo, v46, s48
	v_add_co_ci_u32_e32 v52, vcc_lo, s49, v47, vcc_lo
	ds_store_b64 v8, v[39:40]
	global_store_b64 v[43:44], v[49:50], off
	s_clause 0x1
	global_store_b64 v[46:47], v[41:42], off
	global_store_b64 v[51:52], v[53:54], off offset:-8
	v_cmpx_gt_i32_e64 v45, v34
	s_cbranch_execz .LBB22_93
; %bb.78:                               ;   in Loop: Header=BB22_53 Depth=2
	v_ashrrev_i32_e32 v46, 31, v45
	v_xor_b32_e32 v54, 0x80000000, v54
	s_mov_b32 s72, -1
	s_mov_b32 s73, 0
	s_mov_b64 s[62:63], s[44:45]
	v_lshlrev_b64 v[43:44], 3, v[45:46]
	s_mov_b64 s[64:65], s[18:19]
	s_mov_b64 s[66:67], s[52:53]
	;; [unrolled: 1-line block ×3, first 2 shown]
	s_branch .LBB22_80
.LBB22_79:                              ;   in Loop: Header=BB22_80 Depth=3
	v_add_co_u32 v60, vcc_lo, s64, v43
	v_add_co_ci_u32_e32 v61, vcc_lo, s65, v44, vcc_lo
	v_mul_f64 v[41:42], v[41:42], v[45:46]
	v_add_f64 v[45:46], v[55:56], v[55:56]
	v_xor_b32_e32 v54, 0x80000000, v52
	global_load_b128 v[47:50], v[60:61], off offset:-8
	v_mov_b32_e32 v53, v51
	s_waitcnt vmcnt(0)
	v_add_f64 v[37:38], v[49:50], -v[39:40]
	s_delay_alu instid0(VALU_DEP_1) | instskip(NEXT) | instid1(VALU_DEP_1)
	v_add_f64 v[39:40], v[47:48], -v[37:38]
	v_mul_f64 v[39:40], v[51:52], v[39:40]
	s_delay_alu instid0(VALU_DEP_1) | instskip(NEXT) | instid1(VALU_DEP_1)
	v_fma_f64 v[45:46], v[41:42], v[45:46], -v[39:40]
	v_fma_f64 v[47:48], v[45:46], -v[51:52], v[37:38]
	v_mul_f64 v[39:40], v[45:46], -v[51:52]
	v_fma_f64 v[37:38], v[55:56], v[45:46], -v[41:42]
	v_add_co_u32 v45, vcc_lo, s68, v43
	v_add_co_ci_u32_e32 v46, vcc_lo, s69, v44, vcc_lo
	s_add_u32 s68, s68, -8
	v_add_co_u32 v49, vcc_lo, s66, v43
	s_addc_u32 s69, s69, -1
	s_add_u32 s66, s66, -8
	v_add_co_ci_u32_e32 v50, vcc_lo, s67, v44, vcc_lo
	s_addc_u32 s67, s67, -1
	s_add_i32 s72, s72, -1
	s_add_u32 s64, s64, -8
	v_dual_mov_b32 v41, v55 :: v_dual_add_nc_u32 v2, s72, v1
	v_mov_b32_e32 v42, v56
	s_addc_u32 s65, s65, -1
	s_add_u32 s62, s62, -8
	s_delay_alu instid0(VALU_DEP_2)
	v_cmp_le_i32_e32 vcc_lo, v2, v34
	s_addc_u32 s63, s63, -1
	global_store_b64 v[60:61], v[47:48], off
	global_store_b64 v[45:46], v[55:56], off
	;; [unrolled: 1-line block ×3, first 2 shown]
	s_or_b32 s73, vcc_lo, s73
	s_delay_alu instid0(SALU_CYCLE_1)
	s_and_not1_b32 exec_lo, exec_lo, s73
	s_cbranch_execz .LBB22_92
.LBB22_80:                              ;   Parent Loop BB22_7 Depth=1
                                        ;     Parent Loop BB22_53 Depth=2
                                        ; =>    This Inner Loop Header: Depth=3
	s_delay_alu instid0(VALU_DEP_1)
	v_add_co_u32 v47, vcc_lo, s62, v43
	v_add_co_ci_u32_e32 v48, vcc_lo, s63, v44, vcc_lo
	v_mov_b32_e32 v55, 0
	v_dual_mov_b32 v56, 0x3ff00000 :: v_dual_mov_b32 v51, 0
	global_load_b64 v[45:46], v[47:48], off
	v_mov_b32_e32 v52, 0
	s_mov_b32 s87, exec_lo
	s_waitcnt vmcnt(0)
	v_mul_f64 v[49:50], v[53:54], v[45:46]
	s_delay_alu instid0(VALU_DEP_1)
	v_cmpx_neq_f64_e32 0, v[49:50]
	s_cbranch_execz .LBB22_90
; %bb.81:                               ;   in Loop: Header=BB22_80 Depth=3
	s_mov_b32 s88, exec_lo
                                        ; implicit-def: $vgpr51_vgpr52
                                        ; implicit-def: $vgpr55_vgpr56
	v_cmpx_neq_f64_e32 0, v[37:38]
	s_xor_b32 s88, exec_lo, s88
	s_cbranch_execz .LBB22_87
; %bb.82:                               ;   in Loop: Header=BB22_80 Depth=3
	v_cmp_ngt_f64_e64 s89, |v[49:50]|, |v[37:38]|
                                        ; implicit-def: $vgpr51_vgpr52
                                        ; implicit-def: $vgpr55_vgpr56
	s_delay_alu instid0(VALU_DEP_1) | instskip(NEXT) | instid1(SALU_CYCLE_1)
	s_and_saveexec_b32 s90, s89
	s_xor_b32 s89, exec_lo, s90
	s_cbranch_execz .LBB22_84
; %bb.83:                               ;   in Loop: Header=BB22_80 Depth=3
	v_div_scale_f64 v[51:52], null, v[37:38], v[37:38], -v[49:50]
	v_div_scale_f64 v[60:61], vcc_lo, -v[49:50], v[37:38], -v[49:50]
	s_delay_alu instid0(VALU_DEP_2) | instskip(SKIP_2) | instid1(VALU_DEP_1)
	v_rcp_f64_e32 v[53:54], v[51:52]
	s_waitcnt_depctr 0xfff
	v_fma_f64 v[55:56], -v[51:52], v[53:54], 1.0
	v_fma_f64 v[53:54], v[53:54], v[55:56], v[53:54]
	s_delay_alu instid0(VALU_DEP_1) | instskip(NEXT) | instid1(VALU_DEP_1)
	v_fma_f64 v[55:56], -v[51:52], v[53:54], 1.0
	v_fma_f64 v[53:54], v[53:54], v[55:56], v[53:54]
	s_delay_alu instid0(VALU_DEP_1) | instskip(NEXT) | instid1(VALU_DEP_1)
	v_mul_f64 v[55:56], v[60:61], v[53:54]
	v_fma_f64 v[51:52], -v[51:52], v[55:56], v[60:61]
	s_delay_alu instid0(VALU_DEP_1) | instskip(NEXT) | instid1(VALU_DEP_1)
	v_div_fmas_f64 v[51:52], v[51:52], v[53:54], v[55:56]
	v_div_fixup_f64 v[51:52], v[51:52], v[37:38], -v[49:50]
	s_delay_alu instid0(VALU_DEP_1) | instskip(NEXT) | instid1(VALU_DEP_1)
	v_fma_f64 v[53:54], v[51:52], v[51:52], 1.0
	v_cmp_gt_f64_e32 vcc_lo, 0x10000000, v[53:54]
	v_cndmask_b32_e64 v2, 0, 1, vcc_lo
	s_delay_alu instid0(VALU_DEP_1) | instskip(NEXT) | instid1(VALU_DEP_1)
	v_lshlrev_b32_e32 v2, 8, v2
	v_ldexp_f64 v[53:54], v[53:54], v2
	v_cndmask_b32_e64 v2, 0, 0xffffff80, vcc_lo
	s_delay_alu instid0(VALU_DEP_2) | instskip(SKIP_4) | instid1(VALU_DEP_1)
	v_rsq_f64_e32 v[55:56], v[53:54]
	v_cmp_class_f64_e64 vcc_lo, v[53:54], 0x260
	s_waitcnt_depctr 0xfff
	v_mul_f64 v[60:61], v[53:54], v[55:56]
	v_mul_f64 v[55:56], v[55:56], 0.5
	v_fma_f64 v[62:63], -v[55:56], v[60:61], 0.5
	s_delay_alu instid0(VALU_DEP_1) | instskip(SKIP_1) | instid1(VALU_DEP_2)
	v_fma_f64 v[60:61], v[60:61], v[62:63], v[60:61]
	v_fma_f64 v[55:56], v[55:56], v[62:63], v[55:56]
	v_fma_f64 v[62:63], -v[60:61], v[60:61], v[53:54]
	s_delay_alu instid0(VALU_DEP_1) | instskip(NEXT) | instid1(VALU_DEP_1)
	v_fma_f64 v[60:61], v[62:63], v[55:56], v[60:61]
	v_fma_f64 v[62:63], -v[60:61], v[60:61], v[53:54]
	s_delay_alu instid0(VALU_DEP_1) | instskip(NEXT) | instid1(VALU_DEP_1)
	v_fma_f64 v[55:56], v[62:63], v[55:56], v[60:61]
	v_ldexp_f64 v[55:56], v[55:56], v2
	s_delay_alu instid0(VALU_DEP_1) | instskip(NEXT) | instid1(VALU_DEP_1)
	v_dual_cndmask_b32 v53, v55, v53 :: v_dual_cndmask_b32 v54, v56, v54
	v_div_scale_f64 v[55:56], null, v[53:54], v[53:54], 1.0
	s_delay_alu instid0(VALU_DEP_1) | instskip(SKIP_2) | instid1(VALU_DEP_1)
	v_rcp_f64_e32 v[60:61], v[55:56]
	s_waitcnt_depctr 0xfff
	v_fma_f64 v[62:63], -v[55:56], v[60:61], 1.0
	v_fma_f64 v[60:61], v[60:61], v[62:63], v[60:61]
	s_delay_alu instid0(VALU_DEP_1) | instskip(NEXT) | instid1(VALU_DEP_1)
	v_fma_f64 v[62:63], -v[55:56], v[60:61], 1.0
	v_fma_f64 v[60:61], v[60:61], v[62:63], v[60:61]
	v_div_scale_f64 v[62:63], vcc_lo, 1.0, v[53:54], 1.0
	s_delay_alu instid0(VALU_DEP_1) | instskip(NEXT) | instid1(VALU_DEP_1)
	v_mul_f64 v[64:65], v[62:63], v[60:61]
	v_fma_f64 v[55:56], -v[55:56], v[64:65], v[62:63]
	s_delay_alu instid0(VALU_DEP_1) | instskip(NEXT) | instid1(VALU_DEP_1)
	v_div_fmas_f64 v[55:56], v[55:56], v[60:61], v[64:65]
	v_div_fixup_f64 v[55:56], v[55:56], v[53:54], 1.0
	s_delay_alu instid0(VALU_DEP_1)
	v_mul_f64 v[51:52], v[51:52], v[55:56]
.LBB22_84:                              ;   in Loop: Header=BB22_80 Depth=3
	s_and_not1_saveexec_b32 s89, s89
	s_cbranch_execz .LBB22_86
; %bb.85:                               ;   in Loop: Header=BB22_80 Depth=3
	v_div_scale_f64 v[51:52], null, v[49:50], v[49:50], -v[37:38]
	v_div_scale_f64 v[60:61], vcc_lo, -v[37:38], v[49:50], -v[37:38]
	s_delay_alu instid0(VALU_DEP_2) | instskip(SKIP_2) | instid1(VALU_DEP_1)
	v_rcp_f64_e32 v[53:54], v[51:52]
	s_waitcnt_depctr 0xfff
	v_fma_f64 v[55:56], -v[51:52], v[53:54], 1.0
	v_fma_f64 v[53:54], v[53:54], v[55:56], v[53:54]
	s_delay_alu instid0(VALU_DEP_1) | instskip(NEXT) | instid1(VALU_DEP_1)
	v_fma_f64 v[55:56], -v[51:52], v[53:54], 1.0
	v_fma_f64 v[53:54], v[53:54], v[55:56], v[53:54]
	s_delay_alu instid0(VALU_DEP_1) | instskip(NEXT) | instid1(VALU_DEP_1)
	v_mul_f64 v[55:56], v[60:61], v[53:54]
	v_fma_f64 v[51:52], -v[51:52], v[55:56], v[60:61]
	s_delay_alu instid0(VALU_DEP_1) | instskip(NEXT) | instid1(VALU_DEP_1)
	v_div_fmas_f64 v[51:52], v[51:52], v[53:54], v[55:56]
	v_div_fixup_f64 v[53:54], v[51:52], v[49:50], -v[37:38]
	s_delay_alu instid0(VALU_DEP_1) | instskip(NEXT) | instid1(VALU_DEP_1)
	v_fma_f64 v[51:52], v[53:54], v[53:54], 1.0
	v_cmp_gt_f64_e32 vcc_lo, 0x10000000, v[51:52]
	v_cndmask_b32_e64 v2, 0, 1, vcc_lo
	s_delay_alu instid0(VALU_DEP_1) | instskip(NEXT) | instid1(VALU_DEP_1)
	v_lshlrev_b32_e32 v2, 8, v2
	v_ldexp_f64 v[51:52], v[51:52], v2
	v_cndmask_b32_e64 v2, 0, 0xffffff80, vcc_lo
	s_delay_alu instid0(VALU_DEP_2) | instskip(SKIP_4) | instid1(VALU_DEP_1)
	v_rsq_f64_e32 v[55:56], v[51:52]
	v_cmp_class_f64_e64 vcc_lo, v[51:52], 0x260
	s_waitcnt_depctr 0xfff
	v_mul_f64 v[60:61], v[51:52], v[55:56]
	v_mul_f64 v[55:56], v[55:56], 0.5
	v_fma_f64 v[62:63], -v[55:56], v[60:61], 0.5
	s_delay_alu instid0(VALU_DEP_1) | instskip(SKIP_1) | instid1(VALU_DEP_2)
	v_fma_f64 v[60:61], v[60:61], v[62:63], v[60:61]
	v_fma_f64 v[55:56], v[55:56], v[62:63], v[55:56]
	v_fma_f64 v[62:63], -v[60:61], v[60:61], v[51:52]
	s_delay_alu instid0(VALU_DEP_1) | instskip(NEXT) | instid1(VALU_DEP_1)
	v_fma_f64 v[60:61], v[62:63], v[55:56], v[60:61]
	v_fma_f64 v[62:63], -v[60:61], v[60:61], v[51:52]
	s_delay_alu instid0(VALU_DEP_1) | instskip(NEXT) | instid1(VALU_DEP_1)
	v_fma_f64 v[55:56], v[62:63], v[55:56], v[60:61]
	v_ldexp_f64 v[55:56], v[55:56], v2
	s_delay_alu instid0(VALU_DEP_1) | instskip(NEXT) | instid1(VALU_DEP_1)
	v_dual_cndmask_b32 v51, v55, v51 :: v_dual_cndmask_b32 v52, v56, v52
	v_div_scale_f64 v[55:56], null, v[51:52], v[51:52], 1.0
	s_delay_alu instid0(VALU_DEP_1) | instskip(SKIP_2) | instid1(VALU_DEP_1)
	v_rcp_f64_e32 v[60:61], v[55:56]
	s_waitcnt_depctr 0xfff
	v_fma_f64 v[62:63], -v[55:56], v[60:61], 1.0
	v_fma_f64 v[60:61], v[60:61], v[62:63], v[60:61]
	s_delay_alu instid0(VALU_DEP_1) | instskip(NEXT) | instid1(VALU_DEP_1)
	v_fma_f64 v[62:63], -v[55:56], v[60:61], 1.0
	v_fma_f64 v[60:61], v[60:61], v[62:63], v[60:61]
	v_div_scale_f64 v[62:63], vcc_lo, 1.0, v[51:52], 1.0
	s_delay_alu instid0(VALU_DEP_1) | instskip(NEXT) | instid1(VALU_DEP_1)
	v_mul_f64 v[64:65], v[62:63], v[60:61]
	v_fma_f64 v[55:56], -v[55:56], v[64:65], v[62:63]
	s_delay_alu instid0(VALU_DEP_1) | instskip(NEXT) | instid1(VALU_DEP_1)
	v_div_fmas_f64 v[55:56], v[55:56], v[60:61], v[64:65]
	v_div_fixup_f64 v[51:52], v[55:56], v[51:52], 1.0
	s_delay_alu instid0(VALU_DEP_1)
	v_mul_f64 v[55:56], v[53:54], v[51:52]
.LBB22_86:                              ;   in Loop: Header=BB22_80 Depth=3
	s_or_b32 exec_lo, exec_lo, s89
	s_delay_alu instid0(VALU_DEP_1) | instskip(NEXT) | instid1(VALU_DEP_1)
	v_mul_f64 v[49:50], v[49:50], v[51:52]
	v_fma_f64 v[37:38], v[37:38], v[55:56], -v[49:50]
                                        ; implicit-def: $vgpr49_vgpr50
.LBB22_87:                              ;   in Loop: Header=BB22_80 Depth=3
	s_and_not1_saveexec_b32 s88, s88
; %bb.88:                               ;   in Loop: Header=BB22_80 Depth=3
	v_xor_b32_e32 v50, 0x80000000, v50
	v_mov_b32_e32 v51, 0
	v_dual_mov_b32 v52, 0x3ff00000 :: v_dual_mov_b32 v55, 0
	v_dual_mov_b32 v56, 0 :: v_dual_mov_b32 v37, v49
	s_delay_alu instid0(VALU_DEP_4)
	v_mov_b32_e32 v38, v50
; %bb.89:                               ;   in Loop: Header=BB22_80 Depth=3
	s_or_b32 exec_lo, exec_lo, s88
.LBB22_90:                              ;   in Loop: Header=BB22_80 Depth=3
	s_delay_alu instid0(SALU_CYCLE_1)
	s_or_b32 exec_lo, exec_lo, s87
	s_cmp_eq_u32 s72, 0
	s_cbranch_scc1 .LBB22_79
; %bb.91:                               ;   in Loop: Header=BB22_80 Depth=3
	global_store_b64 v[47:48], v[37:38], off offset:8
	s_branch .LBB22_79
.LBB22_92:                              ;   in Loop: Header=BB22_53 Depth=2
	s_or_b32 exec_lo, exec_lo, s73
	ds_store_b64 v8, v[39:40]
.LBB22_93:                              ;   in Loop: Header=BB22_53 Depth=2
	s_or_b32 exec_lo, exec_lo, s71
	global_load_b64 v[45:46], v[35:36], off
.LBB22_94:                              ;   in Loop: Header=BB22_53 Depth=2
	s_or_b32 exec_lo, exec_lo, s70
	s_waitcnt vmcnt(0)
	v_add_f64 v[1:2], v[45:46], -v[39:40]
                                        ; implicit-def: $vgpr34
                                        ; implicit-def: $vgpr45_vgpr46
	global_store_b64 v[35:36], v[1:2], off
	global_store_b64 v[3:4], v[37:38], off
                                        ; implicit-def: $vgpr37_vgpr38
                                        ; implicit-def: $vgpr35_vgpr36
.LBB22_95:                              ;   in Loop: Header=BB22_53 Depth=2
	s_and_not1_saveexec_b32 s62, s5
	s_cbranch_execz .LBB22_132
; %bb.96:                               ;   in Loop: Header=BB22_53 Depth=2
	v_add_co_u32 v39, vcc_lo, s10, v37
	v_add_co_ci_u32_e32 v40, vcc_lo, s74, v38, vcc_lo
                                        ; implicit-def: $vgpr49_vgpr50
	global_load_b64 v[1:2], v[35:36], off offset:8
	global_load_b64 v[47:48], v[39:40], off
	s_waitcnt vmcnt(1)
	v_add_f64 v[43:44], v[45:46], -v[1:2]
	s_waitcnt vmcnt(0)
	v_add_f64 v[41:42], v[47:48], v[47:48]
	s_delay_alu instid0(VALU_DEP_1) | instskip(NEXT) | instid1(VALU_DEP_1)
	v_cmp_ngt_f64_e64 s5, |v[43:44]|, |v[41:42]|
	s_and_saveexec_b32 s63, s5
	s_delay_alu instid0(SALU_CYCLE_1)
	s_xor_b32 s5, exec_lo, s63
	s_cbranch_execz .LBB22_102
; %bb.97:                               ;   in Loop: Header=BB22_53 Depth=2
	v_cmp_nlt_f64_e64 s63, |v[43:44]|, |v[41:42]|
                                        ; implicit-def: $vgpr49_vgpr50
	s_delay_alu instid0(VALU_DEP_1) | instskip(NEXT) | instid1(SALU_CYCLE_1)
	s_and_saveexec_b32 s64, s63
	s_xor_b32 s63, exec_lo, s64
; %bb.98:                               ;   in Loop: Header=BB22_53 Depth=2
	v_mul_f64 v[49:50], |v[41:42]|, s[58:59]
; %bb.99:                               ;   in Loop: Header=BB22_53 Depth=2
	s_and_not1_saveexec_b32 s63, s63
	s_cbranch_execz .LBB22_101
; %bb.100:                              ;   in Loop: Header=BB22_53 Depth=2
	v_dual_mov_b32 v3, v43 :: v_dual_and_b32 v4, 0x7fffffff, v44
	v_dual_mov_b32 v49, v41 :: v_dual_and_b32 v50, 0x7fffffff, v42
	s_delay_alu instid0(VALU_DEP_1) | instskip(SKIP_1) | instid1(VALU_DEP_2)
	v_div_scale_f64 v[51:52], null, v[49:50], v[49:50], v[3:4]
	v_div_scale_f64 v[3:4], vcc_lo, v[3:4], v[49:50], v[3:4]
	v_rcp_f64_e32 v[53:54], v[51:52]
	s_waitcnt_depctr 0xfff
	v_fma_f64 v[55:56], -v[51:52], v[53:54], 1.0
	s_delay_alu instid0(VALU_DEP_1) | instskip(NEXT) | instid1(VALU_DEP_1)
	v_fma_f64 v[53:54], v[53:54], v[55:56], v[53:54]
	v_fma_f64 v[55:56], -v[51:52], v[53:54], 1.0
	s_delay_alu instid0(VALU_DEP_1) | instskip(NEXT) | instid1(VALU_DEP_1)
	v_fma_f64 v[49:50], v[53:54], v[55:56], v[53:54]
	v_mul_f64 v[53:54], v[3:4], v[49:50]
	s_delay_alu instid0(VALU_DEP_1) | instskip(NEXT) | instid1(VALU_DEP_1)
	v_fma_f64 v[3:4], -v[51:52], v[53:54], v[3:4]
	v_div_fmas_f64 v[3:4], v[3:4], v[49:50], v[53:54]
	s_delay_alu instid0(VALU_DEP_1) | instskip(NEXT) | instid1(VALU_DEP_1)
	v_div_fixup_f64 v[3:4], v[3:4], |v[41:42]|, |v[43:44]|
	v_fma_f64 v[3:4], v[3:4], v[3:4], 1.0
	s_delay_alu instid0(VALU_DEP_1) | instskip(SKIP_1) | instid1(VALU_DEP_1)
	v_cmp_gt_f64_e32 vcc_lo, 0x10000000, v[3:4]
	v_cndmask_b32_e64 v9, 0, 1, vcc_lo
	v_lshlrev_b32_e32 v9, 8, v9
	s_delay_alu instid0(VALU_DEP_1) | instskip(SKIP_1) | instid1(VALU_DEP_2)
	v_ldexp_f64 v[3:4], v[3:4], v9
	v_cndmask_b32_e64 v9, 0, 0xffffff80, vcc_lo
	v_rsq_f64_e32 v[49:50], v[3:4]
	v_cmp_class_f64_e64 vcc_lo, v[3:4], 0x260
	s_waitcnt_depctr 0xfff
	v_mul_f64 v[51:52], v[3:4], v[49:50]
	v_mul_f64 v[49:50], v[49:50], 0.5
	s_delay_alu instid0(VALU_DEP_1) | instskip(NEXT) | instid1(VALU_DEP_1)
	v_fma_f64 v[53:54], -v[49:50], v[51:52], 0.5
	v_fma_f64 v[51:52], v[51:52], v[53:54], v[51:52]
	v_fma_f64 v[49:50], v[49:50], v[53:54], v[49:50]
	s_delay_alu instid0(VALU_DEP_2) | instskip(NEXT) | instid1(VALU_DEP_1)
	v_fma_f64 v[53:54], -v[51:52], v[51:52], v[3:4]
	v_fma_f64 v[51:52], v[53:54], v[49:50], v[51:52]
	s_delay_alu instid0(VALU_DEP_1) | instskip(NEXT) | instid1(VALU_DEP_1)
	v_fma_f64 v[53:54], -v[51:52], v[51:52], v[3:4]
	v_fma_f64 v[49:50], v[53:54], v[49:50], v[51:52]
	s_delay_alu instid0(VALU_DEP_1) | instskip(NEXT) | instid1(VALU_DEP_1)
	v_ldexp_f64 v[49:50], v[49:50], v9
	v_dual_cndmask_b32 v4, v50, v4 :: v_dual_cndmask_b32 v3, v49, v3
	s_delay_alu instid0(VALU_DEP_1)
	v_mul_f64 v[49:50], |v[41:42]|, v[3:4]
.LBB22_101:                             ;   in Loop: Header=BB22_53 Depth=2
	s_or_b32 exec_lo, exec_lo, s63
.LBB22_102:                             ;   in Loop: Header=BB22_53 Depth=2
	s_and_not1_saveexec_b32 s5, s5
	s_cbranch_execz .LBB22_104
; %bb.103:                              ;   in Loop: Header=BB22_53 Depth=2
	v_dual_mov_b32 v3, v41 :: v_dual_and_b32 v4, 0x7fffffff, v42
	v_dual_mov_b32 v49, v43 :: v_dual_and_b32 v50, 0x7fffffff, v44
	s_delay_alu instid0(VALU_DEP_1) | instskip(SKIP_1) | instid1(VALU_DEP_2)
	v_div_scale_f64 v[51:52], null, v[49:50], v[49:50], v[3:4]
	v_div_scale_f64 v[3:4], vcc_lo, v[3:4], v[49:50], v[3:4]
	v_rcp_f64_e32 v[53:54], v[51:52]
	s_waitcnt_depctr 0xfff
	v_fma_f64 v[55:56], -v[51:52], v[53:54], 1.0
	s_delay_alu instid0(VALU_DEP_1) | instskip(NEXT) | instid1(VALU_DEP_1)
	v_fma_f64 v[53:54], v[53:54], v[55:56], v[53:54]
	v_fma_f64 v[55:56], -v[51:52], v[53:54], 1.0
	s_delay_alu instid0(VALU_DEP_1) | instskip(NEXT) | instid1(VALU_DEP_1)
	v_fma_f64 v[49:50], v[53:54], v[55:56], v[53:54]
	v_mul_f64 v[53:54], v[3:4], v[49:50]
	s_delay_alu instid0(VALU_DEP_1) | instskip(NEXT) | instid1(VALU_DEP_1)
	v_fma_f64 v[3:4], -v[51:52], v[53:54], v[3:4]
	v_div_fmas_f64 v[3:4], v[3:4], v[49:50], v[53:54]
	s_delay_alu instid0(VALU_DEP_1) | instskip(NEXT) | instid1(VALU_DEP_1)
	v_div_fixup_f64 v[3:4], v[3:4], |v[43:44]|, |v[41:42]|
	v_fma_f64 v[3:4], v[3:4], v[3:4], 1.0
	s_delay_alu instid0(VALU_DEP_1) | instskip(SKIP_1) | instid1(VALU_DEP_1)
	v_cmp_gt_f64_e32 vcc_lo, 0x10000000, v[3:4]
	v_cndmask_b32_e64 v9, 0, 1, vcc_lo
	v_lshlrev_b32_e32 v9, 8, v9
	s_delay_alu instid0(VALU_DEP_1) | instskip(SKIP_1) | instid1(VALU_DEP_2)
	v_ldexp_f64 v[3:4], v[3:4], v9
	v_cndmask_b32_e64 v9, 0, 0xffffff80, vcc_lo
	v_rsq_f64_e32 v[49:50], v[3:4]
	v_cmp_class_f64_e64 vcc_lo, v[3:4], 0x260
	s_waitcnt_depctr 0xfff
	v_mul_f64 v[51:52], v[3:4], v[49:50]
	v_mul_f64 v[49:50], v[49:50], 0.5
	s_delay_alu instid0(VALU_DEP_1) | instskip(NEXT) | instid1(VALU_DEP_1)
	v_fma_f64 v[53:54], -v[49:50], v[51:52], 0.5
	v_fma_f64 v[51:52], v[51:52], v[53:54], v[51:52]
	v_fma_f64 v[49:50], v[49:50], v[53:54], v[49:50]
	s_delay_alu instid0(VALU_DEP_2) | instskip(NEXT) | instid1(VALU_DEP_1)
	v_fma_f64 v[53:54], -v[51:52], v[51:52], v[3:4]
	v_fma_f64 v[51:52], v[53:54], v[49:50], v[51:52]
	s_delay_alu instid0(VALU_DEP_1) | instskip(NEXT) | instid1(VALU_DEP_1)
	v_fma_f64 v[53:54], -v[51:52], v[51:52], v[3:4]
	v_fma_f64 v[49:50], v[53:54], v[49:50], v[51:52]
	s_delay_alu instid0(VALU_DEP_1) | instskip(NEXT) | instid1(VALU_DEP_1)
	v_ldexp_f64 v[49:50], v[49:50], v9
	v_dual_cndmask_b32 v4, v50, v4 :: v_dual_cndmask_b32 v3, v49, v3
	s_delay_alu instid0(VALU_DEP_1)
	v_mul_f64 v[49:50], |v[43:44]|, v[3:4]
.LBB22_104:                             ;   in Loop: Header=BB22_53 Depth=2
	s_or_b32 exec_lo, exec_lo, s5
	v_cmp_gt_f64_e64 vcc_lo, |v[45:46]|, |v[1:2]|
	v_add_f64 v[53:54], v[45:46], v[1:2]
	s_mov_b32 s63, exec_lo
                                        ; implicit-def: $vgpr9
                                        ; implicit-def: $vgpr3_vgpr4
	v_dual_cndmask_b32 v52, v46, v2 :: v_dual_cndmask_b32 v51, v45, v1
	v_dual_cndmask_b32 v46, v2, v46 :: v_dual_cndmask_b32 v45, v1, v45
	s_delay_alu instid0(VALU_DEP_3)
	v_cmpx_ngt_f64_e32 0, v[53:54]
	s_xor_b32 s63, exec_lo, s63
	s_cbranch_execz .LBB22_110
; %bb.105:                              ;   in Loop: Header=BB22_53 Depth=2
	s_mov_b32 s64, exec_lo
                                        ; implicit-def: $sgpr5
                                        ; implicit-def: $vgpr3_vgpr4
	v_cmpx_nlt_f64_e32 0, v[53:54]
	s_xor_b32 s64, exec_lo, s64
; %bb.106:                              ;   in Loop: Header=BB22_53 Depth=2
	v_mul_f64 v[1:2], v[49:50], 0.5
	v_mul_f64 v[3:4], v[49:50], -0.5
	s_mov_b32 s5, 1
                                        ; implicit-def: $vgpr53_vgpr54
                                        ; implicit-def: $vgpr45_vgpr46
                                        ; implicit-def: $vgpr47_vgpr48
                                        ; implicit-def: $vgpr51_vgpr52
; %bb.107:                              ;   in Loop: Header=BB22_53 Depth=2
	s_or_saveexec_b32 s64, s64
	v_mov_b32_e32 v9, s5
	s_xor_b32 exec_lo, exec_lo, s64
	s_cbranch_execz .LBB22_109
; %bb.108:                              ;   in Loop: Header=BB22_53 Depth=2
	v_add_f64 v[1:2], v[53:54], v[49:50]
	v_mov_b32_e32 v9, 1
	s_delay_alu instid0(VALU_DEP_2) | instskip(NEXT) | instid1(VALU_DEP_1)
	v_mul_f64 v[1:2], v[1:2], 0.5
	v_div_scale_f64 v[3:4], null, v[1:2], v[1:2], v[45:46]
	v_div_scale_f64 v[53:54], null, v[1:2], v[1:2], v[47:48]
	v_div_scale_f64 v[66:67], vcc_lo, v[45:46], v[1:2], v[45:46]
	s_delay_alu instid0(VALU_DEP_3) | instskip(NEXT) | instid1(VALU_DEP_2)
	v_rcp_f64_e32 v[55:56], v[3:4]
	v_rcp_f64_e32 v[60:61], v[53:54]
	s_waitcnt_depctr 0xfff
	v_fma_f64 v[62:63], -v[3:4], v[55:56], 1.0
	v_fma_f64 v[64:65], -v[53:54], v[60:61], 1.0
	s_delay_alu instid0(VALU_DEP_2) | instskip(NEXT) | instid1(VALU_DEP_2)
	v_fma_f64 v[55:56], v[55:56], v[62:63], v[55:56]
	v_fma_f64 v[60:61], v[60:61], v[64:65], v[60:61]
	s_delay_alu instid0(VALU_DEP_2) | instskip(NEXT) | instid1(VALU_DEP_2)
	v_fma_f64 v[62:63], -v[3:4], v[55:56], 1.0
	v_fma_f64 v[64:65], -v[53:54], v[60:61], 1.0
	s_delay_alu instid0(VALU_DEP_2) | instskip(SKIP_1) | instid1(VALU_DEP_3)
	v_fma_f64 v[55:56], v[55:56], v[62:63], v[55:56]
	v_div_scale_f64 v[62:63], s5, v[47:48], v[1:2], v[47:48]
	v_fma_f64 v[60:61], v[60:61], v[64:65], v[60:61]
	s_delay_alu instid0(VALU_DEP_3) | instskip(NEXT) | instid1(VALU_DEP_2)
	v_mul_f64 v[64:65], v[66:67], v[55:56]
	v_mul_f64 v[68:69], v[62:63], v[60:61]
	s_delay_alu instid0(VALU_DEP_2) | instskip(NEXT) | instid1(VALU_DEP_2)
	v_fma_f64 v[3:4], -v[3:4], v[64:65], v[66:67]
	v_fma_f64 v[53:54], -v[53:54], v[68:69], v[62:63]
	s_delay_alu instid0(VALU_DEP_2) | instskip(SKIP_1) | instid1(VALU_DEP_2)
	v_div_fmas_f64 v[3:4], v[3:4], v[55:56], v[64:65]
	s_mov_b32 vcc_lo, s5
	v_div_fmas_f64 v[53:54], v[53:54], v[60:61], v[68:69]
	s_delay_alu instid0(VALU_DEP_2) | instskip(NEXT) | instid1(VALU_DEP_2)
	v_div_fixup_f64 v[3:4], v[3:4], v[1:2], v[45:46]
	v_div_fixup_f64 v[53:54], v[53:54], v[1:2], v[47:48]
	s_delay_alu instid0(VALU_DEP_1) | instskip(NEXT) | instid1(VALU_DEP_1)
	v_mul_f64 v[45:46], v[47:48], v[53:54]
	v_fma_f64 v[3:4], v[51:52], v[3:4], -v[45:46]
.LBB22_109:                             ;   in Loop: Header=BB22_53 Depth=2
	s_or_b32 exec_lo, exec_lo, s64
                                        ; implicit-def: $vgpr53_vgpr54
                                        ; implicit-def: $vgpr45_vgpr46
                                        ; implicit-def: $vgpr47_vgpr48
                                        ; implicit-def: $vgpr51_vgpr52
.LBB22_110:                             ;   in Loop: Header=BB22_53 Depth=2
	s_and_not1_saveexec_b32 s63, s63
	s_cbranch_execz .LBB22_112
; %bb.111:                              ;   in Loop: Header=BB22_53 Depth=2
	v_add_f64 v[1:2], v[53:54], -v[49:50]
	v_mov_b32_e32 v9, -1
	s_delay_alu instid0(VALU_DEP_2) | instskip(NEXT) | instid1(VALU_DEP_1)
	v_mul_f64 v[1:2], v[1:2], 0.5
	v_div_scale_f64 v[3:4], null, v[1:2], v[1:2], v[45:46]
	v_div_scale_f64 v[53:54], null, v[1:2], v[1:2], v[47:48]
	v_div_scale_f64 v[66:67], vcc_lo, v[45:46], v[1:2], v[45:46]
	s_delay_alu instid0(VALU_DEP_3) | instskip(NEXT) | instid1(VALU_DEP_2)
	v_rcp_f64_e32 v[55:56], v[3:4]
	v_rcp_f64_e32 v[60:61], v[53:54]
	s_waitcnt_depctr 0xfff
	v_fma_f64 v[62:63], -v[3:4], v[55:56], 1.0
	v_fma_f64 v[64:65], -v[53:54], v[60:61], 1.0
	s_delay_alu instid0(VALU_DEP_2) | instskip(NEXT) | instid1(VALU_DEP_2)
	v_fma_f64 v[55:56], v[55:56], v[62:63], v[55:56]
	v_fma_f64 v[60:61], v[60:61], v[64:65], v[60:61]
	s_delay_alu instid0(VALU_DEP_2) | instskip(NEXT) | instid1(VALU_DEP_2)
	v_fma_f64 v[62:63], -v[3:4], v[55:56], 1.0
	v_fma_f64 v[64:65], -v[53:54], v[60:61], 1.0
	s_delay_alu instid0(VALU_DEP_2) | instskip(SKIP_1) | instid1(VALU_DEP_3)
	v_fma_f64 v[55:56], v[55:56], v[62:63], v[55:56]
	v_div_scale_f64 v[62:63], s5, v[47:48], v[1:2], v[47:48]
	v_fma_f64 v[60:61], v[60:61], v[64:65], v[60:61]
	s_delay_alu instid0(VALU_DEP_3) | instskip(NEXT) | instid1(VALU_DEP_2)
	v_mul_f64 v[64:65], v[66:67], v[55:56]
	v_mul_f64 v[68:69], v[62:63], v[60:61]
	s_delay_alu instid0(VALU_DEP_2) | instskip(NEXT) | instid1(VALU_DEP_2)
	v_fma_f64 v[3:4], -v[3:4], v[64:65], v[66:67]
	v_fma_f64 v[53:54], -v[53:54], v[68:69], v[62:63]
	s_delay_alu instid0(VALU_DEP_2) | instskip(SKIP_1) | instid1(VALU_DEP_2)
	v_div_fmas_f64 v[3:4], v[3:4], v[55:56], v[64:65]
	s_mov_b32 vcc_lo, s5
	v_div_fmas_f64 v[53:54], v[53:54], v[60:61], v[68:69]
	s_delay_alu instid0(VALU_DEP_2) | instskip(NEXT) | instid1(VALU_DEP_2)
	v_div_fixup_f64 v[3:4], v[3:4], v[1:2], v[45:46]
	v_div_fixup_f64 v[53:54], v[53:54], v[1:2], v[47:48]
	s_delay_alu instid0(VALU_DEP_1) | instskip(NEXT) | instid1(VALU_DEP_1)
	v_mul_f64 v[45:46], v[47:48], v[53:54]
	v_fma_f64 v[3:4], v[51:52], v[3:4], -v[45:46]
.LBB22_112:                             ;   in Loop: Header=BB22_53 Depth=2
	s_or_b32 exec_lo, exec_lo, s63
	s_delay_alu instid0(SALU_CYCLE_1)
	s_mov_b32 s63, exec_lo
                                        ; implicit-def: $vgpr45_vgpr46
                                        ; implicit-def: $sgpr5
	v_cmpx_le_f64_e32 0, v[43:44]
	s_xor_b32 s63, exec_lo, s63
; %bb.113:                              ;   in Loop: Header=BB22_53 Depth=2
	v_add_f64 v[45:46], v[43:44], v[49:50]
	s_mov_b32 s5, 1
                                        ; implicit-def: $vgpr43_vgpr44
                                        ; implicit-def: $vgpr49_vgpr50
; %bb.114:                              ;   in Loop: Header=BB22_53 Depth=2
	s_or_saveexec_b32 s63, s63
	v_mov_b32_e32 v51, s5
	s_xor_b32 exec_lo, exec_lo, s63
; %bb.115:                              ;   in Loop: Header=BB22_53 Depth=2
	v_add_f64 v[45:46], v[43:44], -v[49:50]
	v_mov_b32_e32 v51, -1
; %bb.116:                              ;   in Loop: Header=BB22_53 Depth=2
	s_or_b32 exec_lo, exec_lo, s63
	s_delay_alu instid0(VALU_DEP_2) | instskip(NEXT) | instid1(VALU_DEP_1)
	v_cmp_ngt_f64_e64 s5, |v[45:46]|, |v[41:42]|
                                        ; implicit-def: $vgpr43_vgpr44
                                        ; implicit-def: $vgpr47_vgpr48
	s_and_saveexec_b32 s63, s5
	s_delay_alu instid0(SALU_CYCLE_1)
	s_xor_b32 s5, exec_lo, s63
	s_cbranch_execz .LBB22_120
; %bb.117:                              ;   in Loop: Header=BB22_53 Depth=2
	v_mov_b32_e32 v43, 0
	v_dual_mov_b32 v44, 0x3ff00000 :: v_dual_mov_b32 v47, 0
	v_mov_b32_e32 v48, 0
	s_mov_b32 s63, exec_lo
	v_cmpx_neq_f64_e32 0, v[41:42]
	s_cbranch_execz .LBB22_119
; %bb.118:                              ;   in Loop: Header=BB22_53 Depth=2
	v_div_scale_f64 v[43:44], null, v[41:42], v[41:42], -v[45:46]
	v_div_scale_f64 v[52:53], vcc_lo, -v[45:46], v[41:42], -v[45:46]
	s_delay_alu instid0(VALU_DEP_2) | instskip(SKIP_2) | instid1(VALU_DEP_1)
	v_rcp_f64_e32 v[47:48], v[43:44]
	s_waitcnt_depctr 0xfff
	v_fma_f64 v[49:50], -v[43:44], v[47:48], 1.0
	v_fma_f64 v[47:48], v[47:48], v[49:50], v[47:48]
	s_delay_alu instid0(VALU_DEP_1) | instskip(NEXT) | instid1(VALU_DEP_1)
	v_fma_f64 v[49:50], -v[43:44], v[47:48], 1.0
	v_fma_f64 v[47:48], v[47:48], v[49:50], v[47:48]
	s_delay_alu instid0(VALU_DEP_1) | instskip(NEXT) | instid1(VALU_DEP_1)
	v_mul_f64 v[49:50], v[52:53], v[47:48]
	v_fma_f64 v[43:44], -v[43:44], v[49:50], v[52:53]
	s_delay_alu instid0(VALU_DEP_1) | instskip(NEXT) | instid1(VALU_DEP_1)
	v_div_fmas_f64 v[43:44], v[43:44], v[47:48], v[49:50]
	v_div_fixup_f64 v[41:42], v[43:44], v[41:42], -v[45:46]
	s_delay_alu instid0(VALU_DEP_1) | instskip(NEXT) | instid1(VALU_DEP_1)
	v_fma_f64 v[43:44], v[41:42], v[41:42], 1.0
	v_cmp_gt_f64_e32 vcc_lo, 0x10000000, v[43:44]
	v_cndmask_b32_e64 v45, 0, 1, vcc_lo
	s_delay_alu instid0(VALU_DEP_1) | instskip(NEXT) | instid1(VALU_DEP_1)
	v_lshlrev_b32_e32 v45, 8, v45
	v_ldexp_f64 v[43:44], v[43:44], v45
	s_delay_alu instid0(VALU_DEP_1) | instskip(SKIP_3) | instid1(VALU_DEP_1)
	v_rsq_f64_e32 v[45:46], v[43:44]
	s_waitcnt_depctr 0xfff
	v_mul_f64 v[47:48], v[43:44], v[45:46]
	v_mul_f64 v[45:46], v[45:46], 0.5
	v_fma_f64 v[49:50], -v[45:46], v[47:48], 0.5
	s_delay_alu instid0(VALU_DEP_1) | instskip(SKIP_1) | instid1(VALU_DEP_2)
	v_fma_f64 v[47:48], v[47:48], v[49:50], v[47:48]
	v_fma_f64 v[45:46], v[45:46], v[49:50], v[45:46]
	v_fma_f64 v[49:50], -v[47:48], v[47:48], v[43:44]
	s_delay_alu instid0(VALU_DEP_1) | instskip(NEXT) | instid1(VALU_DEP_1)
	v_fma_f64 v[47:48], v[49:50], v[45:46], v[47:48]
	v_fma_f64 v[49:50], -v[47:48], v[47:48], v[43:44]
	s_delay_alu instid0(VALU_DEP_1) | instskip(SKIP_2) | instid1(VALU_DEP_2)
	v_fma_f64 v[45:46], v[49:50], v[45:46], v[47:48]
	v_cndmask_b32_e64 v47, 0, 0xffffff80, vcc_lo
	v_cmp_class_f64_e64 vcc_lo, v[43:44], 0x260
	v_ldexp_f64 v[45:46], v[45:46], v47
	s_delay_alu instid0(VALU_DEP_1) | instskip(NEXT) | instid1(VALU_DEP_1)
	v_dual_cndmask_b32 v44, v46, v44 :: v_dual_cndmask_b32 v43, v45, v43
	v_div_scale_f64 v[45:46], null, v[43:44], v[43:44], 1.0
	s_delay_alu instid0(VALU_DEP_1) | instskip(SKIP_2) | instid1(VALU_DEP_1)
	v_rcp_f64_e32 v[47:48], v[45:46]
	s_waitcnt_depctr 0xfff
	v_fma_f64 v[49:50], -v[45:46], v[47:48], 1.0
	v_fma_f64 v[47:48], v[47:48], v[49:50], v[47:48]
	s_delay_alu instid0(VALU_DEP_1) | instskip(NEXT) | instid1(VALU_DEP_1)
	v_fma_f64 v[49:50], -v[45:46], v[47:48], 1.0
	v_fma_f64 v[47:48], v[47:48], v[49:50], v[47:48]
	v_div_scale_f64 v[49:50], vcc_lo, 1.0, v[43:44], 1.0
	s_delay_alu instid0(VALU_DEP_1) | instskip(NEXT) | instid1(VALU_DEP_1)
	v_mul_f64 v[52:53], v[49:50], v[47:48]
	v_fma_f64 v[45:46], -v[45:46], v[52:53], v[49:50]
	s_delay_alu instid0(VALU_DEP_1) | instskip(NEXT) | instid1(VALU_DEP_1)
	v_div_fmas_f64 v[45:46], v[45:46], v[47:48], v[52:53]
	v_div_fixup_f64 v[43:44], v[45:46], v[43:44], 1.0
	s_delay_alu instid0(VALU_DEP_1)
	v_mul_f64 v[47:48], v[41:42], v[43:44]
.LBB22_119:                             ;   in Loop: Header=BB22_53 Depth=2
	s_or_b32 exec_lo, exec_lo, s63
                                        ; implicit-def: $vgpr45_vgpr46
                                        ; implicit-def: $vgpr41_vgpr42
.LBB22_120:                             ;   in Loop: Header=BB22_53 Depth=2
	s_and_not1_saveexec_b32 s5, s5
	s_cbranch_execz .LBB22_122
; %bb.121:                              ;   in Loop: Header=BB22_53 Depth=2
	v_div_scale_f64 v[43:44], null, v[45:46], v[45:46], -v[41:42]
	v_div_scale_f64 v[52:53], vcc_lo, -v[41:42], v[45:46], -v[41:42]
	s_delay_alu instid0(VALU_DEP_2) | instskip(SKIP_2) | instid1(VALU_DEP_1)
	v_rcp_f64_e32 v[47:48], v[43:44]
	s_waitcnt_depctr 0xfff
	v_fma_f64 v[49:50], -v[43:44], v[47:48], 1.0
	v_fma_f64 v[47:48], v[47:48], v[49:50], v[47:48]
	s_delay_alu instid0(VALU_DEP_1) | instskip(NEXT) | instid1(VALU_DEP_1)
	v_fma_f64 v[49:50], -v[43:44], v[47:48], 1.0
	v_fma_f64 v[47:48], v[47:48], v[49:50], v[47:48]
	s_delay_alu instid0(VALU_DEP_1) | instskip(NEXT) | instid1(VALU_DEP_1)
	v_mul_f64 v[49:50], v[52:53], v[47:48]
	v_fma_f64 v[43:44], -v[43:44], v[49:50], v[52:53]
	s_delay_alu instid0(VALU_DEP_1) | instskip(NEXT) | instid1(VALU_DEP_1)
	v_div_fmas_f64 v[43:44], v[43:44], v[47:48], v[49:50]
	v_div_fixup_f64 v[41:42], v[43:44], v[45:46], -v[41:42]
	s_delay_alu instid0(VALU_DEP_1) | instskip(NEXT) | instid1(VALU_DEP_1)
	v_fma_f64 v[43:44], v[41:42], v[41:42], 1.0
	v_cmp_gt_f64_e32 vcc_lo, 0x10000000, v[43:44]
	v_cndmask_b32_e64 v45, 0, 1, vcc_lo
	s_delay_alu instid0(VALU_DEP_1) | instskip(NEXT) | instid1(VALU_DEP_1)
	v_lshlrev_b32_e32 v45, 8, v45
	v_ldexp_f64 v[43:44], v[43:44], v45
	s_delay_alu instid0(VALU_DEP_1) | instskip(SKIP_3) | instid1(VALU_DEP_1)
	v_rsq_f64_e32 v[45:46], v[43:44]
	s_waitcnt_depctr 0xfff
	v_mul_f64 v[47:48], v[43:44], v[45:46]
	v_mul_f64 v[45:46], v[45:46], 0.5
	v_fma_f64 v[49:50], -v[45:46], v[47:48], 0.5
	s_delay_alu instid0(VALU_DEP_1) | instskip(SKIP_1) | instid1(VALU_DEP_2)
	v_fma_f64 v[47:48], v[47:48], v[49:50], v[47:48]
	v_fma_f64 v[45:46], v[45:46], v[49:50], v[45:46]
	v_fma_f64 v[49:50], -v[47:48], v[47:48], v[43:44]
	s_delay_alu instid0(VALU_DEP_1) | instskip(NEXT) | instid1(VALU_DEP_1)
	v_fma_f64 v[47:48], v[49:50], v[45:46], v[47:48]
	v_fma_f64 v[49:50], -v[47:48], v[47:48], v[43:44]
	s_delay_alu instid0(VALU_DEP_1) | instskip(SKIP_2) | instid1(VALU_DEP_2)
	v_fma_f64 v[45:46], v[49:50], v[45:46], v[47:48]
	v_cndmask_b32_e64 v47, 0, 0xffffff80, vcc_lo
	v_cmp_class_f64_e64 vcc_lo, v[43:44], 0x260
	v_ldexp_f64 v[45:46], v[45:46], v47
	s_delay_alu instid0(VALU_DEP_1) | instskip(NEXT) | instid1(VALU_DEP_1)
	v_dual_cndmask_b32 v44, v46, v44 :: v_dual_cndmask_b32 v43, v45, v43
	v_div_scale_f64 v[45:46], null, v[43:44], v[43:44], 1.0
	s_delay_alu instid0(VALU_DEP_1) | instskip(SKIP_2) | instid1(VALU_DEP_1)
	v_rcp_f64_e32 v[47:48], v[45:46]
	s_waitcnt_depctr 0xfff
	v_fma_f64 v[49:50], -v[45:46], v[47:48], 1.0
	v_fma_f64 v[47:48], v[47:48], v[49:50], v[47:48]
	s_delay_alu instid0(VALU_DEP_1) | instskip(NEXT) | instid1(VALU_DEP_1)
	v_fma_f64 v[49:50], -v[45:46], v[47:48], 1.0
	v_fma_f64 v[47:48], v[47:48], v[49:50], v[47:48]
	v_div_scale_f64 v[49:50], vcc_lo, 1.0, v[43:44], 1.0
	s_delay_alu instid0(VALU_DEP_1) | instskip(NEXT) | instid1(VALU_DEP_1)
	v_mul_f64 v[52:53], v[49:50], v[47:48]
	v_fma_f64 v[45:46], -v[45:46], v[52:53], v[49:50]
	s_delay_alu instid0(VALU_DEP_1) | instskip(NEXT) | instid1(VALU_DEP_1)
	v_div_fmas_f64 v[45:46], v[45:46], v[47:48], v[52:53]
	v_div_fixup_f64 v[47:48], v[45:46], v[43:44], 1.0
	s_delay_alu instid0(VALU_DEP_1)
	v_mul_f64 v[43:44], v[41:42], v[47:48]
.LBB22_122:                             ;   in Loop: Header=BB22_53 Depth=2
	s_or_b32 exec_lo, exec_lo, s5
	v_cmp_eq_u32_e32 vcc_lo, v9, v51
	s_delay_alu instid0(VALU_DEP_2) | instskip(SKIP_1) | instid1(VALU_DEP_1)
	v_xor_b32_e32 v9, 0x80000000, v48
	v_add_co_u32 v37, s5, s77, v37
	v_add_co_ci_u32_e64 v38, s5, s78, v38, s5
	v_dual_cndmask_b32 v42, v48, v44 :: v_dual_cndmask_b32 v41, v47, v43
	s_delay_alu instid0(VALU_DEP_4) | instskip(NEXT) | instid1(VALU_DEP_4)
	v_dual_cndmask_b32 v44, v44, v9 :: v_dual_cndmask_b32 v43, v43, v47
	v_add_co_u32 v45, vcc_lo, v37, s48
	v_dual_mov_b32 v9, v8 :: v_dual_add_nc_u32 v34, 2, v34
	v_add_co_ci_u32_e32 v46, vcc_lo, s49, v38, vcc_lo
	s_clause 0x1
	global_store_b64 v[37:38], v[43:44], off
	global_store_b64 v[45:46], v[41:42], off offset:-8
	global_store_b128 v[35:36], v[1:4], off
	global_store_b64 v[39:40], v[8:9], off
	ds_store_b32 v8, v34 offset:16
	s_or_b32 exec_lo, exec_lo, s62
                                        ; implicit-def: $vgpr2
.LBB22_123:                             ;   in Loop: Header=BB22_53 Depth=2
	s_and_not1_saveexec_b32 s5, s60
	s_cbranch_execz .LBB22_125
.LBB22_124:                             ;   in Loop: Header=BB22_53 Depth=2
	ds_store_b32 v8, v2 offset:16
.LBB22_125:                             ;   in Loop: Header=BB22_53 Depth=2
	s_or_b32 exec_lo, exec_lo, s5
.LBB22_126:                             ;   in Loop: Header=BB22_53 Depth=2
	s_delay_alu instid0(SALU_CYCLE_1)
	s_or_b32 exec_lo, exec_lo, s37
	s_waitcnt lgkmcnt(0)
	s_waitcnt_vscnt null, 0x0
	s_barrier
	buffer_gl0_inv
	ds_load_b64 v[1:2], v8 offset:16
	s_waitcnt lgkmcnt(0)
	v_readfirstlane_b32 s5, v2
	s_delay_alu instid0(VALU_DEP_1)
	v_cmp_eq_u32_e32 vcc_lo, s5, v1
	v_mov_b32_e32 v34, s5
	s_cbranch_vccnz .LBB22_52
; %bb.127:                              ;   in Loop: Header=BB22_53 Depth=2
	s_and_saveexec_b32 s37, s2
	s_cbranch_execz .LBB22_51
; %bb.128:                              ;   in Loop: Header=BB22_53 Depth=2
	ds_load_b32 v1, v8 offset:28
	v_mov_b32_e32 v38, v6
	s_waitcnt lgkmcnt(0)
	v_readfirstlane_b32 s60, v1
	v_ashrrev_i32_e32 v2, 31, v1
	s_delay_alu instid0(VALU_DEP_2) | instskip(NEXT) | instid1(VALU_DEP_1)
	s_mul_i32 s62, s60, s11
	v_lshlrev_b64 v[1:2], 3, v[1:2]
	s_ashr_i32 s63, s62, 31
	s_delay_alu instid0(SALU_CYCLE_1) | instskip(NEXT) | instid1(SALU_CYCLE_1)
	s_lshl_b64 s[68:69], s[62:63], 4
	s_add_u32 s62, s75, s68
	s_addc_u32 s63, s76, s69
	s_sub_i32 s64, s5, s60
	s_delay_alu instid0(SALU_CYCLE_1) | instskip(SKIP_1) | instid1(SALU_CYCLE_1)
	s_mul_hi_i32 s67, s64, s42
	s_mul_i32 s66, s64, s42
	s_lshl_b64 s[66:67], s[66:67], 4
	s_delay_alu instid0(SALU_CYCLE_1) | instskip(SKIP_4) | instid1(SALU_CYCLE_1)
	s_add_u32 s65, s62, s66
	s_addc_u32 s66, s63, s67
	s_cmp_gt_i32 s64, 0
	s_cselect_b32 s67, -1, 0
	s_add_i32 s60, s64, -1
	s_lshl_b64 s[70:71], s[60:61], 3
	s_mul_i32 s5, s55, s60
	s_mul_hi_u32 s72, s54, s60
	s_mul_i32 s60, s54, s60
	v_add_co_u32 v1, vcc_lo, v1, s70
	s_add_i32 s72, s72, s5
	s_add_u32 s5, s60, s68
	v_add_co_ci_u32_e32 v2, vcc_lo, s71, v2, vcc_lo
	s_addc_u32 s60, s72, s69
	v_add_co_u32 v34, vcc_lo, v7, s5
	v_add_co_ci_u32_e32 v35, vcc_lo, s60, v57, vcc_lo
	v_add_co_u32 v36, vcc_lo, s77, v1
	v_add_co_ci_u32_e32 v37, vcc_lo, s78, v2, vcc_lo
	s_mov_b32 s60, 0
	s_branch .LBB22_130
.LBB22_129:                             ;   in Loop: Header=BB22_130 Depth=3
	v_add_nc_u32_e32 v38, s34, v38
	v_add_co_u32 v34, s5, v34, s56
	s_delay_alu instid0(VALU_DEP_1) | instskip(NEXT) | instid1(VALU_DEP_3)
	v_add_co_ci_u32_e64 v35, s5, s57, v35, s5
	v_cmp_le_i32_e32 vcc_lo, s6, v38
	s_waitcnt vmcnt(0)
	global_store_b128 v[39:40], v[1:4], off
	s_or_b32 s60, vcc_lo, s60
	s_delay_alu instid0(SALU_CYCLE_1)
	s_and_not1_b32 exec_lo, exec_lo, s60
	s_cbranch_execz .LBB22_51
.LBB22_130:                             ;   Parent Loop BB22_7 Depth=1
                                        ;     Parent Loop BB22_53 Depth=2
                                        ; =>    This Loop Header: Depth=3
                                        ;         Child Loop BB22_131 Depth 4
	v_ashrrev_i32_e32 v39, 31, v38
	v_dual_mov_b32 v42, v35 :: v_dual_mov_b32 v41, v34
	v_dual_mov_b32 v44, v37 :: v_dual_mov_b32 v43, v36
	s_delay_alu instid0(VALU_DEP_3) | instskip(SKIP_1) | instid1(VALU_DEP_1)
	v_lshlrev_b64 v[39:40], 4, v[38:39]
	s_mov_b32 s5, s64
	v_add_co_u32 v1, vcc_lo, s65, v39
	s_delay_alu instid0(VALU_DEP_2)
	v_add_co_ci_u32_e32 v2, vcc_lo, s66, v40, vcc_lo
	v_add_co_u32 v39, vcc_lo, s62, v39
	v_add_co_ci_u32_e32 v40, vcc_lo, s63, v40, vcc_lo
	global_load_b128 v[1:4], v[1:2], off
	s_and_not1_b32 vcc_lo, exec_lo, s67
	s_cbranch_vccnz .LBB22_129
	.p2align	6
.LBB22_131:                             ;   Parent Loop BB22_7 Depth=1
                                        ;     Parent Loop BB22_53 Depth=2
                                        ;       Parent Loop BB22_130 Depth=3
                                        ; =>      This Inner Loop Header: Depth=4
	v_add_co_u32 v49, vcc_lo, v43, s7
	v_add_co_ci_u32_e32 v50, vcc_lo, s83, v44, vcc_lo
	s_mul_i32 s69, s5, s43
	s_mul_hi_u32 s71, s5, s42
	global_load_b128 v[45:48], v[41:42], off offset:-8
	s_clause 0x1
	global_load_b64 v[49:50], v[49:50], off
	global_load_b64 v[51:52], v[43:44], off
	s_mul_i32 s68, s5, s42
	s_add_i32 s69, s71, s69
	v_add_co_u32 v43, vcc_lo, v43, -8
	s_lshl_b64 s[68:69], s[68:69], 4
	v_add_co_ci_u32_e32 v44, vcc_lo, -1, v44, vcc_lo
	s_add_i32 s70, s5, -1
	v_add_co_u32 v41, vcc_lo, v41, s35
	v_add_co_ci_u32_e32 v42, vcc_lo, s84, v42, vcc_lo
	s_cmp_eq_u32 s70, 0
	s_waitcnt vmcnt(1)
	v_mul_f64 v[55:56], v[49:50], v[47:48]
	s_waitcnt vmcnt(0)
	v_mul_f64 v[53:54], v[51:52], v[45:46]
	v_mul_f64 v[45:46], v[49:50], v[45:46]
	;; [unrolled: 1-line block ×3, first 2 shown]
	s_delay_alu instid0(VALU_DEP_4) | instskip(NEXT) | instid1(VALU_DEP_3)
	v_fma_f64 v[47:48], v[3:4], v[51:52], -v[55:56]
	v_fma_f64 v[45:46], v[1:2], v[51:52], -v[45:46]
	v_fma_f64 v[1:2], v[1:2], v[49:50], v[53:54]
	s_delay_alu instid0(VALU_DEP_4) | instskip(SKIP_1) | instid1(VALU_DEP_1)
	v_fma_f64 v[3:4], v[3:4], v[49:50], v[60:61]
	v_add_co_u32 v49, s5, v39, s68
	v_add_co_ci_u32_e64 v50, s5, s69, v40, s5
	s_mov_b32 s5, s70
	global_store_b128 v[49:50], v[45:48], off
	s_cbranch_scc0 .LBB22_131
	s_branch .LBB22_129
.LBB22_132:                             ;   in Loop: Header=BB22_53 Depth=2
	s_or_b32 exec_lo, exec_lo, s62
                                        ; implicit-def: $vgpr2
	s_and_not1_saveexec_b32 s5, s60
	s_cbranch_execnz .LBB22_124
	s_branch .LBB22_125
.LBB22_133:                             ;   in Loop: Header=BB22_7 Depth=1
	v_dual_mov_b32 v33, v25 :: v_dual_mov_b32 v32, v24
	v_dual_mov_b32 v31, v23 :: v_dual_mov_b32 v30, v22
	v_mov_b32_e32 v27, v59
	s_branch .LBB22_6
.LBB22_134:                             ;   in Loop: Header=BB22_7 Depth=1
                                        ; implicit-def: $vgpr32_vgpr33
                                        ; implicit-def: $vgpr30_vgpr31
                                        ; implicit-def: $vgpr27
	s_branch .LBB22_137
.LBB22_135:                             ;   in Loop: Header=BB22_137 Depth=2
	s_or_b32 exec_lo, exec_lo, s5
	s_waitcnt_vscnt null, 0x0
	s_barrier
	buffer_gl0_inv
	ds_load_b32 v26, v8 offset:16
.LBB22_136:                             ;   in Loop: Header=BB22_137 Depth=2
	ds_load_b64 v[28:29], v8 offset:32
	s_waitcnt lgkmcnt(0)
	v_cmp_ge_i32_e32 vcc_lo, v26, v28
	v_cmp_gt_i32_e64 s3, s33, v29
	s_delay_alu instid0(VALU_DEP_1)
	s_and_b32 s3, vcc_lo, s3
.LBB22_137:                             ;   Parent Loop BB22_7 Depth=1
                                        ; =>  This Loop Header: Depth=2
                                        ;       Child Loop BB22_146 Depth 3
                                        ;       Child Loop BB22_165 Depth 3
	;; [unrolled: 1-line block ×3, first 2 shown]
                                        ;         Child Loop BB22_216 Depth 4
	s_delay_alu instid0(SALU_CYCLE_1)
	s_and_not1_b32 vcc_lo, exec_lo, s3
	s_cbranch_vccnz .LBB22_218
; %bb.138:                              ;   in Loop: Header=BB22_137 Depth=2
	s_and_saveexec_b32 s5, s4
	s_cbranch_execz .LBB22_211
; %bb.139:                              ;   in Loop: Header=BB22_137 Depth=2
	v_cmp_gt_i32_e32 vcc_lo, v26, v28
	s_mov_b32 s3, 0
	s_cbranch_vccnz .LBB22_143
; %bb.140:                              ;   in Loop: Header=BB22_137 Depth=2
	v_ashrrev_i32_e32 v27, 31, v26
	v_mov_b32_e32 v2, v26
	s_mov_b32 s37, -1
	s_delay_alu instid0(VALU_DEP_2)
	v_mov_b32_e32 v3, v27
	v_mov_b32_e32 v1, v26
	s_cbranch_execz .LBB22_144
; %bb.141:                              ;   in Loop: Header=BB22_137 Depth=2
	s_and_b32 vcc_lo, exec_lo, s37
	s_cbranch_vccz .LBB22_149
.LBB22_142:                             ;   in Loop: Header=BB22_137 Depth=2
	ds_store_2addr_b32 v8, v1, v26 offset0:5 offset1:7
	s_cbranch_execz .LBB22_150
	s_branch .LBB22_151
.LBB22_143:                             ;   in Loop: Header=BB22_137 Depth=2
	s_mov_b32 s37, 0
                                        ; implicit-def: $vgpr2_vgpr3
	v_mov_b32_e32 v1, v26
.LBB22_144:                             ;   in Loop: Header=BB22_137 Depth=2
	v_ashrrev_i32_e32 v27, 31, v26
	v_mov_b32_e32 v9, v26
	s_delay_alu instid0(VALU_DEP_2) | instskip(NEXT) | instid1(VALU_DEP_1)
	v_lshlrev_b64 v[3:4], 3, v[26:27]
	v_add_co_u32 v1, vcc_lo, s85, v3
	s_delay_alu instid0(VALU_DEP_2)
	v_add_co_ci_u32_e32 v2, vcc_lo, s86, v4, vcc_lo
	v_add_co_u32 v3, vcc_lo, s10, v3
	v_add_co_ci_u32_e32 v4, vcc_lo, s74, v4, vcc_lo
	s_branch .LBB22_146
	.p2align	6
.LBB22_145:                             ;   in Loop: Header=BB22_146 Depth=3
	v_add_nc_u32_e32 v9, -1, v58
	v_add_co_u32 v1, vcc_lo, v1, -8
	v_add_co_ci_u32_e32 v2, vcc_lo, -1, v2, vcc_lo
	s_delay_alu instid0(VALU_DEP_3) | instskip(SKIP_2) | instid1(VALU_DEP_2)
	v_cmp_le_i32_e64 s37, v9, v28
	s_mov_b32 s3, 0
	v_dual_mov_b32 v3, v12 :: v_dual_mov_b32 v4, v13
	s_and_not1_b32 vcc_lo, exec_lo, s37
	s_cbranch_vccz .LBB22_148
.LBB22_146:                             ;   Parent Loop BB22_7 Depth=1
                                        ;     Parent Loop BB22_137 Depth=2
                                        ; =>    This Inner Loop Header: Depth=3
	global_load_b128 v[12:15], v[1:2], off
	global_load_b64 v[30:31], v[3:4], off offset:-8
	v_mov_b32_e32 v58, v9
	s_waitcnt vmcnt(1)
	v_mul_f64 v[12:13], v[14:15], v[12:13]
	s_waitcnt vmcnt(0)
	v_mul_f64 v[14:15], v[30:31], v[30:31]
	s_delay_alu instid0(VALU_DEP_2) | instskip(NEXT) | instid1(VALU_DEP_1)
	v_mul_f64 v[12:13], v[10:11], |v[12:13]|
	v_cmp_le_f64_e64 s3, |v[14:15]|, v[12:13]
	v_add_co_u32 v12, vcc_lo, v3, -8
	v_add_co_ci_u32_e32 v13, vcc_lo, -1, v4, vcc_lo
	s_delay_alu instid0(VALU_DEP_3)
	s_and_b32 vcc_lo, exec_lo, s3
	s_cbranch_vccz .LBB22_145
; %bb.147:                              ;   in Loop: Header=BB22_137 Depth=2
	s_mov_b32 s3, -1
                                        ; implicit-def: $vgpr9
                                        ; implicit-def: $vgpr1_vgpr2
	s_delay_alu instid0(VALU_DEP_1)
	v_dual_mov_b32 v3, v12 :: v_dual_mov_b32 v4, v13
.LBB22_148:                             ;   in Loop: Header=BB22_137 Depth=2
	v_dual_mov_b32 v1, v28 :: v_dual_mov_b32 v2, v26
	v_dual_mov_b32 v14, v26 :: v_dual_mov_b32 v15, v27
	v_mov_b32_e32 v3, v27
	s_xor_b32 s37, s3, -1
	s_mov_b32 s3, -1
	s_and_b32 vcc_lo, exec_lo, s37
	s_cbranch_vccnz .LBB22_142
.LBB22_149:                             ;   in Loop: Header=BB22_137 Depth=2
                                        ; implicit-def: $vgpr1
                                        ; implicit-def: $vgpr2_vgpr3
	s_and_not1_b32 vcc_lo, exec_lo, s3
	s_cbranch_vccnz .LBB22_151
.LBB22_150:                             ;   in Loop: Header=BB22_137 Depth=2
	v_dual_mov_b32 v9, v8 :: v_dual_mov_b32 v2, v14
	v_mov_b32_e32 v3, v15
	v_mov_b32_e32 v1, v58
	ds_store_2addr_b32 v8, v58, v26 offset0:5 offset1:7
	global_store_b64 v[12:13], v[8:9], off
.LBB22_151:                             ;   in Loop: Header=BB22_137 Depth=2
	v_lshlrev_b64 v[30:31], 3, v[2:3]
	v_add_nc_u32_e32 v2, -1, v26
	s_mov_b32 s3, exec_lo
	s_delay_alu instid0(VALU_DEP_2) | instskip(NEXT) | instid1(VALU_DEP_3)
	v_add_co_u32 v27, vcc_lo, s18, v30
	v_add_co_ci_u32_e32 v28, vcc_lo, s19, v31, vcc_lo
	global_load_b64 v[38:39], v[27:28], off
	s_waitcnt vmcnt(0)
	ds_store_b64 v8, v[38:39]
	v_cmpx_ne_u32_e64 v1, v26
	s_xor_b32 s37, exec_lo, s3
	s_cbranch_execz .LBB22_208
; %bb.152:                              ;   in Loop: Header=BB22_137 Depth=2
	s_mov_b32 s3, exec_lo
	v_cmpx_ne_u32_e64 v1, v2
	s_xor_b32 s60, exec_lo, s3
	s_cbranch_execz .LBB22_180
; %bb.153:                              ;   in Loop: Header=BB22_137 Depth=2
	v_add_co_u32 v3, vcc_lo, s44, v30
	v_add_co_ci_u32_e32 v4, vcc_lo, s45, v31, vcc_lo
	s_mov_b32 s62, exec_lo
	global_load_b64 v[30:31], v[27:28], off offset:-8
	global_load_b64 v[32:33], v[3:4], off
	s_waitcnt vmcnt(1)
	v_add_f64 v[30:31], v[30:31], -v[38:39]
	s_waitcnt vmcnt(0)
	v_add_f64 v[34:35], v[32:33], v[32:33]
	s_delay_alu instid0(VALU_DEP_1) | instskip(SKIP_1) | instid1(VALU_DEP_2)
	v_div_scale_f64 v[36:37], null, v[34:35], v[34:35], v[30:31]
	v_div_scale_f64 v[44:45], vcc_lo, v[30:31], v[34:35], v[30:31]
	v_rcp_f64_e32 v[40:41], v[36:37]
	s_waitcnt_depctr 0xfff
	v_fma_f64 v[42:43], -v[36:37], v[40:41], 1.0
	s_delay_alu instid0(VALU_DEP_1) | instskip(NEXT) | instid1(VALU_DEP_1)
	v_fma_f64 v[40:41], v[40:41], v[42:43], v[40:41]
	v_fma_f64 v[42:43], -v[36:37], v[40:41], 1.0
	s_delay_alu instid0(VALU_DEP_1) | instskip(NEXT) | instid1(VALU_DEP_1)
	v_fma_f64 v[40:41], v[40:41], v[42:43], v[40:41]
	v_mul_f64 v[42:43], v[44:45], v[40:41]
	s_delay_alu instid0(VALU_DEP_1) | instskip(NEXT) | instid1(VALU_DEP_1)
	v_fma_f64 v[36:37], -v[36:37], v[42:43], v[44:45]
	v_div_fmas_f64 v[36:37], v[36:37], v[40:41], v[42:43]
	s_delay_alu instid0(VALU_DEP_1) | instskip(NEXT) | instid1(VALU_DEP_1)
	v_div_fixup_f64 v[30:31], v[36:37], v[34:35], v[30:31]
	v_fma_f64 v[34:35], v[30:31], v[30:31], 1.0
	s_delay_alu instid0(VALU_DEP_1) | instskip(SKIP_1) | instid1(VALU_DEP_1)
	v_cmp_gt_f64_e32 vcc_lo, 0x10000000, v[34:35]
	v_cndmask_b32_e64 v2, 0, 1, vcc_lo
	v_lshlrev_b32_e32 v2, 8, v2
	s_delay_alu instid0(VALU_DEP_1) | instskip(SKIP_1) | instid1(VALU_DEP_2)
	v_ldexp_f64 v[34:35], v[34:35], v2
	v_cndmask_b32_e64 v2, 0, 0xffffff80, vcc_lo
	v_rsq_f64_e32 v[36:37], v[34:35]
	v_cmp_class_f64_e64 vcc_lo, v[34:35], 0x260
	s_waitcnt_depctr 0xfff
	v_mul_f64 v[40:41], v[34:35], v[36:37]
	v_mul_f64 v[36:37], v[36:37], 0.5
	s_delay_alu instid0(VALU_DEP_1) | instskip(NEXT) | instid1(VALU_DEP_1)
	v_fma_f64 v[42:43], -v[36:37], v[40:41], 0.5
	v_fma_f64 v[40:41], v[40:41], v[42:43], v[40:41]
	v_fma_f64 v[36:37], v[36:37], v[42:43], v[36:37]
	s_delay_alu instid0(VALU_DEP_2) | instskip(NEXT) | instid1(VALU_DEP_1)
	v_fma_f64 v[42:43], -v[40:41], v[40:41], v[34:35]
	v_fma_f64 v[40:41], v[42:43], v[36:37], v[40:41]
	s_delay_alu instid0(VALU_DEP_1) | instskip(NEXT) | instid1(VALU_DEP_1)
	v_fma_f64 v[42:43], -v[40:41], v[40:41], v[34:35]
	v_fma_f64 v[36:37], v[42:43], v[36:37], v[40:41]
	s_delay_alu instid0(VALU_DEP_1) | instskip(NEXT) | instid1(VALU_DEP_1)
	v_ldexp_f64 v[36:37], v[36:37], v2
	v_cndmask_b32_e32 v2, v37, v35, vcc_lo
	s_delay_alu instid0(VALU_DEP_2) | instskip(SKIP_1) | instid1(VALU_DEP_3)
	v_cndmask_b32_e32 v34, v36, v34, vcc_lo
	v_cmp_nle_f64_e32 vcc_lo, 0, v[30:31]
	v_and_b32_e32 v9, 0x7fffffff, v2
	v_or_b32_e32 v2, 0x80000000, v2
	s_delay_alu instid0(VALU_DEP_1) | instskip(SKIP_2) | instid1(VALU_DEP_2)
	v_cndmask_b32_e32 v35, v9, v2, vcc_lo
	v_ashrrev_i32_e32 v2, 31, v1
	v_mov_b32_e32 v9, v8
	v_lshlrev_b64 v[40:41], 3, v[1:2]
	v_add_nc_u32_e32 v2, 1, v29
	v_add_f64 v[30:31], v[30:31], v[34:35]
	s_delay_alu instid0(VALU_DEP_3) | instskip(NEXT) | instid1(VALU_DEP_4)
	v_add_co_u32 v36, vcc_lo, s18, v40
	v_add_co_ci_u32_e32 v37, vcc_lo, s19, v41, vcc_lo
	global_load_b64 v[42:43], v[36:37], off
	ds_store_b32 v8, v2 offset:36
	ds_store_b64 v8, v[8:9]
	v_div_scale_f64 v[34:35], null, v[30:31], v[30:31], v[32:33]
	s_delay_alu instid0(VALU_DEP_1) | instskip(SKIP_2) | instid1(VALU_DEP_1)
	v_rcp_f64_e32 v[44:45], v[34:35]
	s_waitcnt_depctr 0xfff
	v_fma_f64 v[46:47], -v[34:35], v[44:45], 1.0
	v_fma_f64 v[44:45], v[44:45], v[46:47], v[44:45]
	s_delay_alu instid0(VALU_DEP_1) | instskip(NEXT) | instid1(VALU_DEP_1)
	v_fma_f64 v[46:47], -v[34:35], v[44:45], 1.0
	v_fma_f64 v[44:45], v[44:45], v[46:47], v[44:45]
	v_div_scale_f64 v[46:47], vcc_lo, v[32:33], v[30:31], v[32:33]
	s_delay_alu instid0(VALU_DEP_1) | instskip(NEXT) | instid1(VALU_DEP_1)
	v_mul_f64 v[48:49], v[46:47], v[44:45]
	v_fma_f64 v[34:35], -v[34:35], v[48:49], v[46:47]
	s_delay_alu instid0(VALU_DEP_1) | instskip(SKIP_2) | instid1(VALU_DEP_2)
	v_div_fmas_f64 v[34:35], v[34:35], v[44:45], v[48:49]
	s_waitcnt vmcnt(0)
	v_add_f64 v[44:45], v[42:43], -v[38:39]
	v_div_fixup_f64 v[30:31], v[34:35], v[30:31], v[32:33]
	v_mov_b32_e32 v34, 0
	v_mov_b32_e32 v35, 0
	s_delay_alu instid0(VALU_DEP_3)
	v_add_f64 v[30:31], v[44:45], v[30:31]
	v_cmpx_lt_i32_e64 v1, v26
	s_cbranch_execz .LBB22_179
; %bb.154:                              ;   in Loop: Header=BB22_137 Depth=2
	v_add_co_u32 v32, vcc_lo, s10, v40
	v_add_co_ci_u32_e32 v33, vcc_lo, s74, v41, vcc_lo
	s_mov_b32 s3, exec_lo
	v_mov_b32_e32 v48, 0
	v_mov_b32_e32 v49, 0
	global_load_b64 v[38:39], v[32:33], off
	v_mov_b32_e32 v32, 0
	v_mov_b32_e32 v33, 0x3ff00000
	s_waitcnt vmcnt(0)
	v_cmpx_neq_f64_e32 0, v[38:39]
	s_cbranch_execz .LBB22_162
; %bb.155:                              ;   in Loop: Header=BB22_137 Depth=2
	v_mov_b32_e32 v48, 0
	v_dual_mov_b32 v49, 0x3ff00000 :: v_dual_mov_b32 v32, 0
	v_mov_b32_e32 v33, 0
	s_mov_b32 s63, exec_lo
	v_cmpx_neq_f64_e32 0, v[30:31]
	s_cbranch_execz .LBB22_161
; %bb.156:                              ;   in Loop: Header=BB22_137 Depth=2
	v_cmp_ngt_f64_e64 s64, |v[38:39]|, |v[30:31]|
                                        ; implicit-def: $vgpr48_vgpr49
                                        ; implicit-def: $vgpr32_vgpr33
	s_delay_alu instid0(VALU_DEP_1) | instskip(NEXT) | instid1(SALU_CYCLE_1)
	s_and_saveexec_b32 s65, s64
	s_xor_b32 s64, exec_lo, s65
	s_cbranch_execz .LBB22_158
; %bb.157:                              ;   in Loop: Header=BB22_137 Depth=2
	v_div_scale_f64 v[32:33], null, v[30:31], v[30:31], -v[38:39]
	v_div_scale_f64 v[46:47], vcc_lo, -v[38:39], v[30:31], -v[38:39]
	s_delay_alu instid0(VALU_DEP_2) | instskip(SKIP_2) | instid1(VALU_DEP_1)
	v_rcp_f64_e32 v[34:35], v[32:33]
	s_waitcnt_depctr 0xfff
	v_fma_f64 v[44:45], -v[32:33], v[34:35], 1.0
	v_fma_f64 v[34:35], v[34:35], v[44:45], v[34:35]
	s_delay_alu instid0(VALU_DEP_1) | instskip(NEXT) | instid1(VALU_DEP_1)
	v_fma_f64 v[44:45], -v[32:33], v[34:35], 1.0
	v_fma_f64 v[34:35], v[34:35], v[44:45], v[34:35]
	s_delay_alu instid0(VALU_DEP_1) | instskip(NEXT) | instid1(VALU_DEP_1)
	v_mul_f64 v[44:45], v[46:47], v[34:35]
	v_fma_f64 v[32:33], -v[32:33], v[44:45], v[46:47]
	s_delay_alu instid0(VALU_DEP_1) | instskip(NEXT) | instid1(VALU_DEP_1)
	v_div_fmas_f64 v[32:33], v[32:33], v[34:35], v[44:45]
	v_div_fixup_f64 v[29:30], v[32:33], v[30:31], -v[38:39]
	s_delay_alu instid0(VALU_DEP_1) | instskip(NEXT) | instid1(VALU_DEP_1)
	v_fma_f64 v[31:32], v[29:30], v[29:30], 1.0
	v_cmp_gt_f64_e32 vcc_lo, 0x10000000, v[31:32]
	v_cndmask_b32_e64 v2, 0, 1, vcc_lo
	s_delay_alu instid0(VALU_DEP_1) | instskip(NEXT) | instid1(VALU_DEP_1)
	v_lshlrev_b32_e32 v2, 8, v2
	v_ldexp_f64 v[31:32], v[31:32], v2
	v_cndmask_b32_e64 v2, 0, 0xffffff80, vcc_lo
	s_delay_alu instid0(VALU_DEP_2) | instskip(SKIP_4) | instid1(VALU_DEP_1)
	v_rsq_f64_e32 v[33:34], v[31:32]
	v_cmp_class_f64_e64 vcc_lo, v[31:32], 0x260
	s_waitcnt_depctr 0xfff
	v_mul_f64 v[44:45], v[31:32], v[33:34]
	v_mul_f64 v[33:34], v[33:34], 0.5
	v_fma_f64 v[46:47], -v[33:34], v[44:45], 0.5
	s_delay_alu instid0(VALU_DEP_1) | instskip(SKIP_1) | instid1(VALU_DEP_2)
	v_fma_f64 v[44:45], v[44:45], v[46:47], v[44:45]
	v_fma_f64 v[33:34], v[33:34], v[46:47], v[33:34]
	v_fma_f64 v[46:47], -v[44:45], v[44:45], v[31:32]
	s_delay_alu instid0(VALU_DEP_1) | instskip(NEXT) | instid1(VALU_DEP_1)
	v_fma_f64 v[44:45], v[46:47], v[33:34], v[44:45]
	v_fma_f64 v[46:47], -v[44:45], v[44:45], v[31:32]
	s_delay_alu instid0(VALU_DEP_1) | instskip(NEXT) | instid1(VALU_DEP_1)
	v_fma_f64 v[33:34], v[46:47], v[33:34], v[44:45]
	v_ldexp_f64 v[33:34], v[33:34], v2
	s_delay_alu instid0(VALU_DEP_1) | instskip(NEXT) | instid1(VALU_DEP_1)
	v_dual_cndmask_b32 v31, v33, v31 :: v_dual_cndmask_b32 v32, v34, v32
	v_div_scale_f64 v[33:34], null, v[31:32], v[31:32], 1.0
	s_delay_alu instid0(VALU_DEP_1) | instskip(SKIP_2) | instid1(VALU_DEP_1)
	v_rcp_f64_e32 v[44:45], v[33:34]
	s_waitcnt_depctr 0xfff
	v_fma_f64 v[46:47], -v[33:34], v[44:45], 1.0
	v_fma_f64 v[44:45], v[44:45], v[46:47], v[44:45]
	s_delay_alu instid0(VALU_DEP_1) | instskip(NEXT) | instid1(VALU_DEP_1)
	v_fma_f64 v[46:47], -v[33:34], v[44:45], 1.0
	v_fma_f64 v[44:45], v[44:45], v[46:47], v[44:45]
	v_div_scale_f64 v[46:47], vcc_lo, 1.0, v[31:32], 1.0
	s_delay_alu instid0(VALU_DEP_1) | instskip(NEXT) | instid1(VALU_DEP_1)
	v_mul_f64 v[48:49], v[46:47], v[44:45]
	v_fma_f64 v[33:34], -v[33:34], v[48:49], v[46:47]
	s_delay_alu instid0(VALU_DEP_1) | instskip(NEXT) | instid1(VALU_DEP_1)
	v_div_fmas_f64 v[33:34], v[33:34], v[44:45], v[48:49]
	v_div_fixup_f64 v[32:33], v[33:34], v[31:32], 1.0
	s_delay_alu instid0(VALU_DEP_1)
	v_mul_f64 v[48:49], v[29:30], v[32:33]
                                        ; implicit-def: $vgpr30_vgpr31
.LBB22_158:                             ;   in Loop: Header=BB22_137 Depth=2
	s_and_not1_saveexec_b32 s64, s64
	s_cbranch_execz .LBB22_160
; %bb.159:                              ;   in Loop: Header=BB22_137 Depth=2
	v_div_scale_f64 v[32:33], null, v[38:39], v[38:39], -v[30:31]
	v_div_scale_f64 v[46:47], vcc_lo, -v[30:31], v[38:39], -v[30:31]
	s_delay_alu instid0(VALU_DEP_2) | instskip(SKIP_2) | instid1(VALU_DEP_1)
	v_rcp_f64_e32 v[34:35], v[32:33]
	s_waitcnt_depctr 0xfff
	v_fma_f64 v[44:45], -v[32:33], v[34:35], 1.0
	v_fma_f64 v[34:35], v[34:35], v[44:45], v[34:35]
	s_delay_alu instid0(VALU_DEP_1) | instskip(NEXT) | instid1(VALU_DEP_1)
	v_fma_f64 v[44:45], -v[32:33], v[34:35], 1.0
	v_fma_f64 v[34:35], v[34:35], v[44:45], v[34:35]
	s_delay_alu instid0(VALU_DEP_1) | instskip(NEXT) | instid1(VALU_DEP_1)
	v_mul_f64 v[44:45], v[46:47], v[34:35]
	v_fma_f64 v[32:33], -v[32:33], v[44:45], v[46:47]
	s_delay_alu instid0(VALU_DEP_1) | instskip(NEXT) | instid1(VALU_DEP_1)
	v_div_fmas_f64 v[32:33], v[32:33], v[34:35], v[44:45]
	v_div_fixup_f64 v[29:30], v[32:33], v[38:39], -v[30:31]
	s_delay_alu instid0(VALU_DEP_1) | instskip(NEXT) | instid1(VALU_DEP_1)
	v_fma_f64 v[31:32], v[29:30], v[29:30], 1.0
	v_cmp_gt_f64_e32 vcc_lo, 0x10000000, v[31:32]
	v_cndmask_b32_e64 v2, 0, 1, vcc_lo
	s_delay_alu instid0(VALU_DEP_1) | instskip(NEXT) | instid1(VALU_DEP_1)
	v_lshlrev_b32_e32 v2, 8, v2
	v_ldexp_f64 v[31:32], v[31:32], v2
	v_cndmask_b32_e64 v2, 0, 0xffffff80, vcc_lo
	s_delay_alu instid0(VALU_DEP_2) | instskip(SKIP_4) | instid1(VALU_DEP_1)
	v_rsq_f64_e32 v[33:34], v[31:32]
	v_cmp_class_f64_e64 vcc_lo, v[31:32], 0x260
	s_waitcnt_depctr 0xfff
	v_mul_f64 v[44:45], v[31:32], v[33:34]
	v_mul_f64 v[33:34], v[33:34], 0.5
	v_fma_f64 v[46:47], -v[33:34], v[44:45], 0.5
	s_delay_alu instid0(VALU_DEP_1) | instskip(SKIP_1) | instid1(VALU_DEP_2)
	v_fma_f64 v[44:45], v[44:45], v[46:47], v[44:45]
	v_fma_f64 v[33:34], v[33:34], v[46:47], v[33:34]
	v_fma_f64 v[46:47], -v[44:45], v[44:45], v[31:32]
	s_delay_alu instid0(VALU_DEP_1) | instskip(NEXT) | instid1(VALU_DEP_1)
	v_fma_f64 v[44:45], v[46:47], v[33:34], v[44:45]
	v_fma_f64 v[46:47], -v[44:45], v[44:45], v[31:32]
	s_delay_alu instid0(VALU_DEP_1) | instskip(NEXT) | instid1(VALU_DEP_1)
	v_fma_f64 v[33:34], v[46:47], v[33:34], v[44:45]
	v_ldexp_f64 v[33:34], v[33:34], v2
	s_delay_alu instid0(VALU_DEP_1) | instskip(NEXT) | instid1(VALU_DEP_1)
	v_dual_cndmask_b32 v31, v33, v31 :: v_dual_cndmask_b32 v32, v34, v32
	v_div_scale_f64 v[33:34], null, v[31:32], v[31:32], 1.0
	s_delay_alu instid0(VALU_DEP_1) | instskip(SKIP_2) | instid1(VALU_DEP_1)
	v_rcp_f64_e32 v[44:45], v[33:34]
	s_waitcnt_depctr 0xfff
	v_fma_f64 v[46:47], -v[33:34], v[44:45], 1.0
	v_fma_f64 v[44:45], v[44:45], v[46:47], v[44:45]
	s_delay_alu instid0(VALU_DEP_1) | instskip(NEXT) | instid1(VALU_DEP_1)
	v_fma_f64 v[46:47], -v[33:34], v[44:45], 1.0
	v_fma_f64 v[44:45], v[44:45], v[46:47], v[44:45]
	v_div_scale_f64 v[46:47], vcc_lo, 1.0, v[31:32], 1.0
	s_delay_alu instid0(VALU_DEP_1) | instskip(NEXT) | instid1(VALU_DEP_1)
	v_mul_f64 v[48:49], v[46:47], v[44:45]
	v_fma_f64 v[33:34], -v[33:34], v[48:49], v[46:47]
	s_delay_alu instid0(VALU_DEP_1) | instskip(NEXT) | instid1(VALU_DEP_1)
	v_div_fmas_f64 v[33:34], v[33:34], v[44:45], v[48:49]
	v_div_fixup_f64 v[48:49], v[33:34], v[31:32], 1.0
	s_delay_alu instid0(VALU_DEP_1)
	v_mul_f64 v[32:33], v[29:30], v[48:49]
.LBB22_160:                             ;   in Loop: Header=BB22_137 Depth=2
	s_or_b32 exec_lo, exec_lo, s64
.LBB22_161:                             ;   in Loop: Header=BB22_137 Depth=2
	s_delay_alu instid0(SALU_CYCLE_1)
	s_or_b32 exec_lo, exec_lo, s63
.LBB22_162:                             ;   in Loop: Header=BB22_137 Depth=2
	s_delay_alu instid0(SALU_CYCLE_1)
	s_or_b32 exec_lo, exec_lo, s3
	global_load_b64 v[29:30], v[36:37], off offset:8
	v_add_f64 v[34:35], v[32:33], v[32:33]
	s_mov_b32 s63, exec_lo
	s_waitcnt vmcnt(0)
	v_add_f64 v[29:30], v[29:30], -v[42:43]
	s_delay_alu instid0(VALU_DEP_1) | instskip(NEXT) | instid1(VALU_DEP_1)
	v_mul_f64 v[29:30], v[48:49], v[29:30]
	v_fma_f64 v[29:30], v[38:39], v[34:35], -v[29:30]
	s_delay_alu instid0(VALU_DEP_1)
	v_mul_f64 v[34:35], v[29:30], -v[48:49]
	v_fma_f64 v[42:43], v[29:30], -v[48:49], v[42:43]
	v_fma_f64 v[30:31], v[32:33], v[29:30], -v[38:39]
	v_add_co_u32 v39, vcc_lo, s77, v40
	v_add_co_ci_u32_e32 v40, vcc_lo, s78, v41, vcc_lo
	v_xor_b32_e32 v49, 0x80000000, v49
	v_add_nc_u32_e32 v38, 1, v1
	s_delay_alu instid0(VALU_DEP_4) | instskip(NEXT) | instid1(VALU_DEP_4)
	v_add_co_u32 v44, vcc_lo, v39, s48
	v_add_co_ci_u32_e32 v45, vcc_lo, s49, v40, vcc_lo
	ds_store_b64 v8, v[34:35]
	global_store_b64 v[36:37], v[42:43], off
	s_clause 0x1
	global_store_b64 v[39:40], v[32:33], off
	global_store_b64 v[44:45], v[48:49], off offset:-8
	v_cmpx_lt_i32_e64 v38, v26
	s_cbranch_execz .LBB22_178
; %bb.163:                              ;   in Loop: Header=BB22_137 Depth=2
	v_ashrrev_i32_e32 v39, 31, v38
	s_mov_b32 s65, 1
	s_mov_b32 s64, 0
	s_delay_alu instid0(VALU_DEP_1) | instskip(NEXT) | instid1(VALU_DEP_1)
	v_lshlrev_b64 v[40:41], 3, v[38:39]
	v_add_co_u32 v36, vcc_lo, s77, v40
	s_delay_alu instid0(VALU_DEP_2)
	v_add_co_ci_u32_e32 v37, vcc_lo, s78, v41, vcc_lo
	v_add_co_u32 v38, vcc_lo, s44, v40
	v_add_co_ci_u32_e32 v39, vcc_lo, s45, v41, vcc_lo
	v_add_co_u32 v40, vcc_lo, s79, v40
	v_add_co_ci_u32_e32 v41, vcc_lo, s80, v41, vcc_lo
	s_branch .LBB22_165
.LBB22_164:                             ;   in Loop: Header=BB22_165 Depth=3
	global_load_b128 v[50:53], v[40:41], off
	v_mul_f64 v[31:32], v[32:33], v[42:43]
	v_add_f64 v[42:43], v[46:47], v[46:47]
	v_add_co_u32 v38, vcc_lo, v38, 8
	v_add_co_ci_u32_e32 v39, vcc_lo, 0, v39, vcc_lo
	s_add_i32 s65, s65, 1
	s_waitcnt vmcnt(0)
	v_add_f64 v[29:30], v[50:51], -v[34:35]
	s_delay_alu instid0(VALU_DEP_1) | instskip(NEXT) | instid1(VALU_DEP_1)
	v_add_f64 v[34:35], v[52:53], -v[29:30]
	v_mul_f64 v[33:34], v[48:49], v[34:35]
	s_delay_alu instid0(VALU_DEP_1) | instskip(NEXT) | instid1(VALU_DEP_1)
	v_fma_f64 v[42:43], v[31:32], v[42:43], -v[33:34]
	v_fma_f64 v[44:45], v[42:43], -v[48:49], v[29:30]
	v_mul_f64 v[34:35], v[42:43], -v[48:49]
	v_fma_f64 v[30:31], v[46:47], v[42:43], -v[31:32]
	v_add_co_u32 v32, vcc_lo, v40, 8
	v_add_co_ci_u32_e32 v33, vcc_lo, 0, v41, vcc_lo
	v_add_nc_u32_e32 v2, s65, v1
	v_add_co_u32 v42, vcc_lo, v36, s7
	v_add_co_ci_u32_e32 v43, vcc_lo, s83, v37, vcc_lo
	v_xor_b32_e32 v49, 0x80000000, v49
	global_store_b64 v[40:41], v[44:45], off
	global_store_b64 v[36:37], v[46:47], off
	v_mov_b32_e32 v41, v33
	v_cmp_ge_i32_e32 vcc_lo, v2, v26
	v_add_co_u32 v36, s3, v36, 8
	v_mov_b32_e32 v40, v32
	v_dual_mov_b32 v32, v46 :: v_dual_mov_b32 v33, v47
	v_add_co_ci_u32_e64 v37, s3, 0, v37, s3
	s_or_b32 s64, vcc_lo, s64
	global_store_b64 v[42:43], v[48:49], off
	s_and_not1_b32 exec_lo, exec_lo, s64
	s_cbranch_execz .LBB22_177
.LBB22_165:                             ;   Parent Loop BB22_7 Depth=1
                                        ;     Parent Loop BB22_137 Depth=2
                                        ; =>    This Inner Loop Header: Depth=3
	global_load_b64 v[42:43], v[38:39], off offset:8
	v_mov_b32_e32 v46, 0
	v_mov_b32_e32 v47, 0x3ff00000
	s_mov_b32 s3, exec_lo
	s_waitcnt vmcnt(0)
	v_mul_f64 v[44:45], v[48:49], v[42:43]
	v_mov_b32_e32 v48, 0
	v_mov_b32_e32 v49, 0
	s_delay_alu instid0(VALU_DEP_3)
	v_cmpx_neq_f64_e32 0, v[44:45]
	s_cbranch_execz .LBB22_175
; %bb.166:                              ;   in Loop: Header=BB22_165 Depth=3
	s_mov_b32 s66, exec_lo
                                        ; implicit-def: $vgpr48_vgpr49
                                        ; implicit-def: $vgpr46_vgpr47
	v_cmpx_neq_f64_e32 0, v[30:31]
	s_xor_b32 s66, exec_lo, s66
	s_cbranch_execz .LBB22_172
; %bb.167:                              ;   in Loop: Header=BB22_165 Depth=3
	v_cmp_ngt_f64_e64 s67, |v[44:45]|, |v[30:31]|
                                        ; implicit-def: $vgpr48_vgpr49
                                        ; implicit-def: $vgpr46_vgpr47
	s_delay_alu instid0(VALU_DEP_1) | instskip(NEXT) | instid1(SALU_CYCLE_1)
	s_and_saveexec_b32 s68, s67
	s_xor_b32 s67, exec_lo, s68
	s_cbranch_execz .LBB22_169
; %bb.168:                              ;   in Loop: Header=BB22_165 Depth=3
	v_div_scale_f64 v[46:47], null, v[30:31], v[30:31], -v[44:45]
	v_div_scale_f64 v[52:53], vcc_lo, -v[44:45], v[30:31], -v[44:45]
	s_delay_alu instid0(VALU_DEP_2) | instskip(SKIP_2) | instid1(VALU_DEP_1)
	v_rcp_f64_e32 v[48:49], v[46:47]
	s_waitcnt_depctr 0xfff
	v_fma_f64 v[50:51], -v[46:47], v[48:49], 1.0
	v_fma_f64 v[48:49], v[48:49], v[50:51], v[48:49]
	s_delay_alu instid0(VALU_DEP_1) | instskip(NEXT) | instid1(VALU_DEP_1)
	v_fma_f64 v[50:51], -v[46:47], v[48:49], 1.0
	v_fma_f64 v[48:49], v[48:49], v[50:51], v[48:49]
	s_delay_alu instid0(VALU_DEP_1) | instskip(NEXT) | instid1(VALU_DEP_1)
	v_mul_f64 v[50:51], v[52:53], v[48:49]
	v_fma_f64 v[46:47], -v[46:47], v[50:51], v[52:53]
	s_delay_alu instid0(VALU_DEP_1) | instskip(NEXT) | instid1(VALU_DEP_1)
	v_div_fmas_f64 v[46:47], v[46:47], v[48:49], v[50:51]
	v_div_fixup_f64 v[48:49], v[46:47], v[30:31], -v[44:45]
	s_delay_alu instid0(VALU_DEP_1) | instskip(NEXT) | instid1(VALU_DEP_1)
	v_fma_f64 v[46:47], v[48:49], v[48:49], 1.0
	v_cmp_gt_f64_e32 vcc_lo, 0x10000000, v[46:47]
	v_cndmask_b32_e64 v2, 0, 1, vcc_lo
	s_delay_alu instid0(VALU_DEP_1) | instskip(NEXT) | instid1(VALU_DEP_1)
	v_lshlrev_b32_e32 v2, 8, v2
	v_ldexp_f64 v[46:47], v[46:47], v2
	v_cndmask_b32_e64 v2, 0, 0xffffff80, vcc_lo
	s_delay_alu instid0(VALU_DEP_2) | instskip(SKIP_4) | instid1(VALU_DEP_1)
	v_rsq_f64_e32 v[50:51], v[46:47]
	v_cmp_class_f64_e64 vcc_lo, v[46:47], 0x260
	s_waitcnt_depctr 0xfff
	v_mul_f64 v[52:53], v[46:47], v[50:51]
	v_mul_f64 v[50:51], v[50:51], 0.5
	v_fma_f64 v[54:55], -v[50:51], v[52:53], 0.5
	s_delay_alu instid0(VALU_DEP_1) | instskip(SKIP_1) | instid1(VALU_DEP_2)
	v_fma_f64 v[52:53], v[52:53], v[54:55], v[52:53]
	v_fma_f64 v[50:51], v[50:51], v[54:55], v[50:51]
	v_fma_f64 v[54:55], -v[52:53], v[52:53], v[46:47]
	s_delay_alu instid0(VALU_DEP_1) | instskip(NEXT) | instid1(VALU_DEP_1)
	v_fma_f64 v[52:53], v[54:55], v[50:51], v[52:53]
	v_fma_f64 v[54:55], -v[52:53], v[52:53], v[46:47]
	s_delay_alu instid0(VALU_DEP_1) | instskip(NEXT) | instid1(VALU_DEP_1)
	v_fma_f64 v[50:51], v[54:55], v[50:51], v[52:53]
	v_ldexp_f64 v[50:51], v[50:51], v2
	s_delay_alu instid0(VALU_DEP_1) | instskip(NEXT) | instid1(VALU_DEP_1)
	v_dual_cndmask_b32 v47, v51, v47 :: v_dual_cndmask_b32 v46, v50, v46
	v_div_scale_f64 v[50:51], null, v[46:47], v[46:47], 1.0
	s_delay_alu instid0(VALU_DEP_1) | instskip(SKIP_2) | instid1(VALU_DEP_1)
	v_rcp_f64_e32 v[52:53], v[50:51]
	s_waitcnt_depctr 0xfff
	v_fma_f64 v[54:55], -v[50:51], v[52:53], 1.0
	v_fma_f64 v[52:53], v[52:53], v[54:55], v[52:53]
	s_delay_alu instid0(VALU_DEP_1) | instskip(NEXT) | instid1(VALU_DEP_1)
	v_fma_f64 v[54:55], -v[50:51], v[52:53], 1.0
	v_fma_f64 v[52:53], v[52:53], v[54:55], v[52:53]
	v_div_scale_f64 v[54:55], vcc_lo, 1.0, v[46:47], 1.0
	s_delay_alu instid0(VALU_DEP_1) | instskip(NEXT) | instid1(VALU_DEP_1)
	v_mul_f64 v[60:61], v[54:55], v[52:53]
	v_fma_f64 v[50:51], -v[50:51], v[60:61], v[54:55]
	s_delay_alu instid0(VALU_DEP_1) | instskip(NEXT) | instid1(VALU_DEP_1)
	v_div_fmas_f64 v[50:51], v[50:51], v[52:53], v[60:61]
	v_div_fixup_f64 v[46:47], v[50:51], v[46:47], 1.0
	s_delay_alu instid0(VALU_DEP_1)
	v_mul_f64 v[48:49], v[48:49], v[46:47]
.LBB22_169:                             ;   in Loop: Header=BB22_165 Depth=3
	s_and_not1_saveexec_b32 s67, s67
	s_cbranch_execz .LBB22_171
; %bb.170:                              ;   in Loop: Header=BB22_165 Depth=3
	v_div_scale_f64 v[46:47], null, v[44:45], v[44:45], -v[30:31]
	v_div_scale_f64 v[52:53], vcc_lo, -v[30:31], v[44:45], -v[30:31]
	s_delay_alu instid0(VALU_DEP_2) | instskip(SKIP_2) | instid1(VALU_DEP_1)
	v_rcp_f64_e32 v[48:49], v[46:47]
	s_waitcnt_depctr 0xfff
	v_fma_f64 v[50:51], -v[46:47], v[48:49], 1.0
	v_fma_f64 v[48:49], v[48:49], v[50:51], v[48:49]
	s_delay_alu instid0(VALU_DEP_1) | instskip(NEXT) | instid1(VALU_DEP_1)
	v_fma_f64 v[50:51], -v[46:47], v[48:49], 1.0
	v_fma_f64 v[48:49], v[48:49], v[50:51], v[48:49]
	s_delay_alu instid0(VALU_DEP_1) | instskip(NEXT) | instid1(VALU_DEP_1)
	v_mul_f64 v[50:51], v[52:53], v[48:49]
	v_fma_f64 v[46:47], -v[46:47], v[50:51], v[52:53]
	s_delay_alu instid0(VALU_DEP_1) | instskip(NEXT) | instid1(VALU_DEP_1)
	v_div_fmas_f64 v[46:47], v[46:47], v[48:49], v[50:51]
	v_div_fixup_f64 v[46:47], v[46:47], v[44:45], -v[30:31]
	s_delay_alu instid0(VALU_DEP_1) | instskip(NEXT) | instid1(VALU_DEP_1)
	v_fma_f64 v[48:49], v[46:47], v[46:47], 1.0
	v_cmp_gt_f64_e32 vcc_lo, 0x10000000, v[48:49]
	v_cndmask_b32_e64 v2, 0, 1, vcc_lo
	s_delay_alu instid0(VALU_DEP_1) | instskip(NEXT) | instid1(VALU_DEP_1)
	v_lshlrev_b32_e32 v2, 8, v2
	v_ldexp_f64 v[48:49], v[48:49], v2
	v_cndmask_b32_e64 v2, 0, 0xffffff80, vcc_lo
	s_delay_alu instid0(VALU_DEP_2) | instskip(SKIP_4) | instid1(VALU_DEP_1)
	v_rsq_f64_e32 v[50:51], v[48:49]
	v_cmp_class_f64_e64 vcc_lo, v[48:49], 0x260
	s_waitcnt_depctr 0xfff
	v_mul_f64 v[52:53], v[48:49], v[50:51]
	v_mul_f64 v[50:51], v[50:51], 0.5
	v_fma_f64 v[54:55], -v[50:51], v[52:53], 0.5
	s_delay_alu instid0(VALU_DEP_1) | instskip(SKIP_1) | instid1(VALU_DEP_2)
	v_fma_f64 v[52:53], v[52:53], v[54:55], v[52:53]
	v_fma_f64 v[50:51], v[50:51], v[54:55], v[50:51]
	v_fma_f64 v[54:55], -v[52:53], v[52:53], v[48:49]
	s_delay_alu instid0(VALU_DEP_1) | instskip(NEXT) | instid1(VALU_DEP_1)
	v_fma_f64 v[52:53], v[54:55], v[50:51], v[52:53]
	v_fma_f64 v[54:55], -v[52:53], v[52:53], v[48:49]
	s_delay_alu instid0(VALU_DEP_1) | instskip(NEXT) | instid1(VALU_DEP_1)
	v_fma_f64 v[50:51], v[54:55], v[50:51], v[52:53]
	v_ldexp_f64 v[50:51], v[50:51], v2
	s_delay_alu instid0(VALU_DEP_1) | instskip(NEXT) | instid1(VALU_DEP_1)
	v_dual_cndmask_b32 v49, v51, v49 :: v_dual_cndmask_b32 v48, v50, v48
	v_div_scale_f64 v[50:51], null, v[48:49], v[48:49], 1.0
	s_delay_alu instid0(VALU_DEP_1) | instskip(SKIP_2) | instid1(VALU_DEP_1)
	v_rcp_f64_e32 v[52:53], v[50:51]
	s_waitcnt_depctr 0xfff
	v_fma_f64 v[54:55], -v[50:51], v[52:53], 1.0
	v_fma_f64 v[52:53], v[52:53], v[54:55], v[52:53]
	s_delay_alu instid0(VALU_DEP_1) | instskip(NEXT) | instid1(VALU_DEP_1)
	v_fma_f64 v[54:55], -v[50:51], v[52:53], 1.0
	v_fma_f64 v[52:53], v[52:53], v[54:55], v[52:53]
	v_div_scale_f64 v[54:55], vcc_lo, 1.0, v[48:49], 1.0
	s_delay_alu instid0(VALU_DEP_1) | instskip(NEXT) | instid1(VALU_DEP_1)
	v_mul_f64 v[60:61], v[54:55], v[52:53]
	v_fma_f64 v[50:51], -v[50:51], v[60:61], v[54:55]
	s_delay_alu instid0(VALU_DEP_1) | instskip(NEXT) | instid1(VALU_DEP_1)
	v_div_fmas_f64 v[50:51], v[50:51], v[52:53], v[60:61]
	v_div_fixup_f64 v[48:49], v[50:51], v[48:49], 1.0
	s_delay_alu instid0(VALU_DEP_1)
	v_mul_f64 v[46:47], v[46:47], v[48:49]
.LBB22_171:                             ;   in Loop: Header=BB22_165 Depth=3
	s_or_b32 exec_lo, exec_lo, s67
	s_delay_alu instid0(VALU_DEP_1) | instskip(NEXT) | instid1(VALU_DEP_1)
	v_mul_f64 v[44:45], v[44:45], v[48:49]
	v_fma_f64 v[30:31], v[30:31], v[46:47], -v[44:45]
                                        ; implicit-def: $vgpr44_vgpr45
.LBB22_172:                             ;   in Loop: Header=BB22_165 Depth=3
	s_and_not1_saveexec_b32 s66, s66
; %bb.173:                              ;   in Loop: Header=BB22_165 Depth=3
	v_xor_b32_e32 v45, 0x80000000, v45
	v_mov_b32_e32 v48, 0
	v_dual_mov_b32 v49, 0x3ff00000 :: v_dual_mov_b32 v46, 0
	v_dual_mov_b32 v47, 0 :: v_dual_mov_b32 v30, v44
	s_delay_alu instid0(VALU_DEP_4)
	v_mov_b32_e32 v31, v45
; %bb.174:                              ;   in Loop: Header=BB22_165 Depth=3
	s_or_b32 exec_lo, exec_lo, s66
.LBB22_175:                             ;   in Loop: Header=BB22_165 Depth=3
	s_delay_alu instid0(SALU_CYCLE_1)
	s_or_b32 exec_lo, exec_lo, s3
	s_cmp_eq_u32 s65, 0
	s_cbranch_scc1 .LBB22_164
; %bb.176:                              ;   in Loop: Header=BB22_165 Depth=3
	global_store_b64 v[38:39], v[30:31], off
	s_branch .LBB22_164
.LBB22_177:                             ;   in Loop: Header=BB22_137 Depth=2
	s_or_b32 exec_lo, exec_lo, s64
	ds_store_b64 v8, v[34:35]
.LBB22_178:                             ;   in Loop: Header=BB22_137 Depth=2
	s_or_b32 exec_lo, exec_lo, s63
	global_load_b64 v[38:39], v[27:28], off
.LBB22_179:                             ;   in Loop: Header=BB22_137 Depth=2
	s_or_b32 exec_lo, exec_lo, s62
	s_waitcnt vmcnt(0)
	v_add_f64 v[1:2], v[38:39], -v[34:35]
                                        ; implicit-def: $vgpr26
                                        ; implicit-def: $vgpr38_vgpr39
	global_store_b64 v[27:28], v[1:2], off
	global_store_b64 v[3:4], v[30:31], off
                                        ; implicit-def: $vgpr27_vgpr28
                                        ; implicit-def: $vgpr30_vgpr31
                                        ; implicit-def: $vgpr1
.LBB22_180:                             ;   in Loop: Header=BB22_137 Depth=2
	s_and_not1_saveexec_b32 s60, s60
	s_cbranch_execz .LBB22_217
; %bb.181:                              ;   in Loop: Header=BB22_137 Depth=2
	v_ashrrev_i32_e32 v2, 31, v1
                                        ; implicit-def: $vgpr42_vgpr43
	s_delay_alu instid0(VALU_DEP_1) | instskip(NEXT) | instid1(VALU_DEP_1)
	v_lshlrev_b64 v[32:33], 3, v[1:2]
	v_add_co_u32 v1, vcc_lo, s18, v32
	s_delay_alu instid0(VALU_DEP_2)
	v_add_co_ci_u32_e32 v2, vcc_lo, s19, v33, vcc_lo
	v_add_co_u32 v3, vcc_lo, s10, v32
	v_add_co_ci_u32_e32 v4, vcc_lo, s74, v33, vcc_lo
	global_load_b64 v[1:2], v[1:2], off
	global_load_b64 v[40:41], v[3:4], off
	s_waitcnt vmcnt(1)
	v_add_f64 v[36:37], v[1:2], -v[38:39]
	s_waitcnt vmcnt(0)
	v_add_f64 v[34:35], v[40:41], v[40:41]
	s_delay_alu instid0(VALU_DEP_1) | instskip(NEXT) | instid1(VALU_DEP_1)
	v_cmp_ngt_f64_e64 s3, |v[36:37]|, |v[34:35]|
	s_and_saveexec_b32 s62, s3
	s_delay_alu instid0(SALU_CYCLE_1)
	s_xor_b32 s3, exec_lo, s62
	s_cbranch_execz .LBB22_187
; %bb.182:                              ;   in Loop: Header=BB22_137 Depth=2
	v_cmp_nlt_f64_e64 s62, |v[36:37]|, |v[34:35]|
                                        ; implicit-def: $vgpr42_vgpr43
	s_delay_alu instid0(VALU_DEP_1) | instskip(NEXT) | instid1(SALU_CYCLE_1)
	s_and_saveexec_b32 s63, s62
	s_xor_b32 s62, exec_lo, s63
; %bb.183:                              ;   in Loop: Header=BB22_137 Depth=2
	v_mul_f64 v[42:43], |v[34:35]|, s[58:59]
; %bb.184:                              ;   in Loop: Header=BB22_137 Depth=2
	s_and_not1_saveexec_b32 s62, s62
	s_cbranch_execz .LBB22_186
; %bb.185:                              ;   in Loop: Header=BB22_137 Depth=2
	v_dual_mov_b32 v3, v36 :: v_dual_and_b32 v4, 0x7fffffff, v37
	v_dual_mov_b32 v42, v34 :: v_dual_and_b32 v43, 0x7fffffff, v35
	s_delay_alu instid0(VALU_DEP_1) | instskip(SKIP_1) | instid1(VALU_DEP_2)
	v_div_scale_f64 v[44:45], null, v[42:43], v[42:43], v[3:4]
	v_div_scale_f64 v[3:4], vcc_lo, v[3:4], v[42:43], v[3:4]
	v_rcp_f64_e32 v[46:47], v[44:45]
	s_waitcnt_depctr 0xfff
	v_fma_f64 v[48:49], -v[44:45], v[46:47], 1.0
	s_delay_alu instid0(VALU_DEP_1) | instskip(NEXT) | instid1(VALU_DEP_1)
	v_fma_f64 v[46:47], v[46:47], v[48:49], v[46:47]
	v_fma_f64 v[48:49], -v[44:45], v[46:47], 1.0
	s_delay_alu instid0(VALU_DEP_1) | instskip(NEXT) | instid1(VALU_DEP_1)
	v_fma_f64 v[42:43], v[46:47], v[48:49], v[46:47]
	v_mul_f64 v[46:47], v[3:4], v[42:43]
	s_delay_alu instid0(VALU_DEP_1) | instskip(NEXT) | instid1(VALU_DEP_1)
	v_fma_f64 v[3:4], -v[44:45], v[46:47], v[3:4]
	v_div_fmas_f64 v[3:4], v[3:4], v[42:43], v[46:47]
	s_delay_alu instid0(VALU_DEP_1) | instskip(NEXT) | instid1(VALU_DEP_1)
	v_div_fixup_f64 v[3:4], v[3:4], |v[34:35]|, |v[36:37]|
	v_fma_f64 v[3:4], v[3:4], v[3:4], 1.0
	s_delay_alu instid0(VALU_DEP_1) | instskip(SKIP_1) | instid1(VALU_DEP_1)
	v_cmp_gt_f64_e32 vcc_lo, 0x10000000, v[3:4]
	v_cndmask_b32_e64 v9, 0, 1, vcc_lo
	v_lshlrev_b32_e32 v9, 8, v9
	s_delay_alu instid0(VALU_DEP_1) | instskip(SKIP_1) | instid1(VALU_DEP_2)
	v_ldexp_f64 v[3:4], v[3:4], v9
	v_cndmask_b32_e64 v9, 0, 0xffffff80, vcc_lo
	v_rsq_f64_e32 v[42:43], v[3:4]
	v_cmp_class_f64_e64 vcc_lo, v[3:4], 0x260
	s_waitcnt_depctr 0xfff
	v_mul_f64 v[44:45], v[3:4], v[42:43]
	v_mul_f64 v[42:43], v[42:43], 0.5
	s_delay_alu instid0(VALU_DEP_1) | instskip(NEXT) | instid1(VALU_DEP_1)
	v_fma_f64 v[46:47], -v[42:43], v[44:45], 0.5
	v_fma_f64 v[44:45], v[44:45], v[46:47], v[44:45]
	v_fma_f64 v[42:43], v[42:43], v[46:47], v[42:43]
	s_delay_alu instid0(VALU_DEP_2) | instskip(NEXT) | instid1(VALU_DEP_1)
	v_fma_f64 v[46:47], -v[44:45], v[44:45], v[3:4]
	v_fma_f64 v[44:45], v[46:47], v[42:43], v[44:45]
	s_delay_alu instid0(VALU_DEP_1) | instskip(NEXT) | instid1(VALU_DEP_1)
	v_fma_f64 v[46:47], -v[44:45], v[44:45], v[3:4]
	v_fma_f64 v[42:43], v[46:47], v[42:43], v[44:45]
	s_delay_alu instid0(VALU_DEP_1) | instskip(NEXT) | instid1(VALU_DEP_1)
	v_ldexp_f64 v[42:43], v[42:43], v9
	v_dual_cndmask_b32 v4, v43, v4 :: v_dual_cndmask_b32 v3, v42, v3
	s_delay_alu instid0(VALU_DEP_1)
	v_mul_f64 v[42:43], |v[34:35]|, v[3:4]
.LBB22_186:                             ;   in Loop: Header=BB22_137 Depth=2
	s_or_b32 exec_lo, exec_lo, s62
.LBB22_187:                             ;   in Loop: Header=BB22_137 Depth=2
	s_and_not1_saveexec_b32 s3, s3
	s_cbranch_execz .LBB22_189
; %bb.188:                              ;   in Loop: Header=BB22_137 Depth=2
	v_dual_mov_b32 v3, v34 :: v_dual_and_b32 v4, 0x7fffffff, v35
	v_dual_mov_b32 v42, v36 :: v_dual_and_b32 v43, 0x7fffffff, v37
	s_delay_alu instid0(VALU_DEP_1) | instskip(SKIP_1) | instid1(VALU_DEP_2)
	v_div_scale_f64 v[44:45], null, v[42:43], v[42:43], v[3:4]
	v_div_scale_f64 v[3:4], vcc_lo, v[3:4], v[42:43], v[3:4]
	v_rcp_f64_e32 v[46:47], v[44:45]
	s_waitcnt_depctr 0xfff
	v_fma_f64 v[48:49], -v[44:45], v[46:47], 1.0
	s_delay_alu instid0(VALU_DEP_1) | instskip(NEXT) | instid1(VALU_DEP_1)
	v_fma_f64 v[46:47], v[46:47], v[48:49], v[46:47]
	v_fma_f64 v[48:49], -v[44:45], v[46:47], 1.0
	s_delay_alu instid0(VALU_DEP_1) | instskip(NEXT) | instid1(VALU_DEP_1)
	v_fma_f64 v[42:43], v[46:47], v[48:49], v[46:47]
	v_mul_f64 v[46:47], v[3:4], v[42:43]
	s_delay_alu instid0(VALU_DEP_1) | instskip(NEXT) | instid1(VALU_DEP_1)
	v_fma_f64 v[3:4], -v[44:45], v[46:47], v[3:4]
	v_div_fmas_f64 v[3:4], v[3:4], v[42:43], v[46:47]
	s_delay_alu instid0(VALU_DEP_1) | instskip(NEXT) | instid1(VALU_DEP_1)
	v_div_fixup_f64 v[3:4], v[3:4], |v[36:37]|, |v[34:35]|
	v_fma_f64 v[3:4], v[3:4], v[3:4], 1.0
	s_delay_alu instid0(VALU_DEP_1) | instskip(SKIP_1) | instid1(VALU_DEP_1)
	v_cmp_gt_f64_e32 vcc_lo, 0x10000000, v[3:4]
	v_cndmask_b32_e64 v9, 0, 1, vcc_lo
	v_lshlrev_b32_e32 v9, 8, v9
	s_delay_alu instid0(VALU_DEP_1) | instskip(SKIP_1) | instid1(VALU_DEP_2)
	v_ldexp_f64 v[3:4], v[3:4], v9
	v_cndmask_b32_e64 v9, 0, 0xffffff80, vcc_lo
	v_rsq_f64_e32 v[42:43], v[3:4]
	v_cmp_class_f64_e64 vcc_lo, v[3:4], 0x260
	s_waitcnt_depctr 0xfff
	v_mul_f64 v[44:45], v[3:4], v[42:43]
	v_mul_f64 v[42:43], v[42:43], 0.5
	s_delay_alu instid0(VALU_DEP_1) | instskip(NEXT) | instid1(VALU_DEP_1)
	v_fma_f64 v[46:47], -v[42:43], v[44:45], 0.5
	v_fma_f64 v[44:45], v[44:45], v[46:47], v[44:45]
	v_fma_f64 v[42:43], v[42:43], v[46:47], v[42:43]
	s_delay_alu instid0(VALU_DEP_2) | instskip(NEXT) | instid1(VALU_DEP_1)
	v_fma_f64 v[46:47], -v[44:45], v[44:45], v[3:4]
	v_fma_f64 v[44:45], v[46:47], v[42:43], v[44:45]
	s_delay_alu instid0(VALU_DEP_1) | instskip(NEXT) | instid1(VALU_DEP_1)
	v_fma_f64 v[46:47], -v[44:45], v[44:45], v[3:4]
	v_fma_f64 v[42:43], v[46:47], v[42:43], v[44:45]
	s_delay_alu instid0(VALU_DEP_1) | instskip(NEXT) | instid1(VALU_DEP_1)
	v_ldexp_f64 v[42:43], v[42:43], v9
	v_dual_cndmask_b32 v4, v43, v4 :: v_dual_cndmask_b32 v3, v42, v3
	s_delay_alu instid0(VALU_DEP_1)
	v_mul_f64 v[42:43], |v[36:37]|, v[3:4]
.LBB22_189:                             ;   in Loop: Header=BB22_137 Depth=2
	s_or_b32 exec_lo, exec_lo, s3
	v_cmp_gt_f64_e64 vcc_lo, |v[1:2]|, |v[38:39]|
	v_add_f64 v[46:47], v[38:39], v[1:2]
	s_mov_b32 s62, exec_lo
                                        ; implicit-def: $vgpr9
                                        ; implicit-def: $vgpr3_vgpr4
	v_dual_cndmask_b32 v45, v2, v39 :: v_dual_cndmask_b32 v44, v1, v38
	v_dual_cndmask_b32 v39, v39, v2 :: v_dual_cndmask_b32 v38, v38, v1
	s_delay_alu instid0(VALU_DEP_3)
	v_cmpx_ngt_f64_e32 0, v[46:47]
	s_xor_b32 s62, exec_lo, s62
	s_cbranch_execz .LBB22_195
; %bb.190:                              ;   in Loop: Header=BB22_137 Depth=2
	s_mov_b32 s63, exec_lo
                                        ; implicit-def: $sgpr3
                                        ; implicit-def: $vgpr3_vgpr4
	v_cmpx_nlt_f64_e32 0, v[46:47]
	s_xor_b32 s63, exec_lo, s63
; %bb.191:                              ;   in Loop: Header=BB22_137 Depth=2
	v_mul_f64 v[1:2], v[42:43], 0.5
	v_mul_f64 v[3:4], v[42:43], -0.5
	s_mov_b32 s3, 1
                                        ; implicit-def: $vgpr46_vgpr47
                                        ; implicit-def: $vgpr38_vgpr39
                                        ; implicit-def: $vgpr40_vgpr41
                                        ; implicit-def: $vgpr44_vgpr45
; %bb.192:                              ;   in Loop: Header=BB22_137 Depth=2
	s_or_saveexec_b32 s63, s63
	v_mov_b32_e32 v9, s3
	s_xor_b32 exec_lo, exec_lo, s63
	s_cbranch_execz .LBB22_194
; %bb.193:                              ;   in Loop: Header=BB22_137 Depth=2
	v_add_f64 v[1:2], v[46:47], v[42:43]
	v_mov_b32_e32 v9, 1
	s_delay_alu instid0(VALU_DEP_2) | instskip(NEXT) | instid1(VALU_DEP_1)
	v_mul_f64 v[1:2], v[1:2], 0.5
	v_div_scale_f64 v[3:4], null, v[1:2], v[1:2], v[38:39]
	v_div_scale_f64 v[46:47], null, v[1:2], v[1:2], v[40:41]
	v_div_scale_f64 v[60:61], vcc_lo, v[38:39], v[1:2], v[38:39]
	s_delay_alu instid0(VALU_DEP_3) | instskip(NEXT) | instid1(VALU_DEP_2)
	v_rcp_f64_e32 v[48:49], v[3:4]
	v_rcp_f64_e32 v[50:51], v[46:47]
	s_waitcnt_depctr 0xfff
	v_fma_f64 v[52:53], -v[3:4], v[48:49], 1.0
	v_fma_f64 v[54:55], -v[46:47], v[50:51], 1.0
	s_delay_alu instid0(VALU_DEP_2) | instskip(NEXT) | instid1(VALU_DEP_2)
	v_fma_f64 v[48:49], v[48:49], v[52:53], v[48:49]
	v_fma_f64 v[50:51], v[50:51], v[54:55], v[50:51]
	s_delay_alu instid0(VALU_DEP_2) | instskip(NEXT) | instid1(VALU_DEP_2)
	v_fma_f64 v[52:53], -v[3:4], v[48:49], 1.0
	v_fma_f64 v[54:55], -v[46:47], v[50:51], 1.0
	s_delay_alu instid0(VALU_DEP_2) | instskip(SKIP_1) | instid1(VALU_DEP_3)
	v_fma_f64 v[48:49], v[48:49], v[52:53], v[48:49]
	v_div_scale_f64 v[52:53], s3, v[40:41], v[1:2], v[40:41]
	v_fma_f64 v[50:51], v[50:51], v[54:55], v[50:51]
	s_delay_alu instid0(VALU_DEP_3) | instskip(NEXT) | instid1(VALU_DEP_2)
	v_mul_f64 v[54:55], v[60:61], v[48:49]
	v_mul_f64 v[62:63], v[52:53], v[50:51]
	s_delay_alu instid0(VALU_DEP_2) | instskip(NEXT) | instid1(VALU_DEP_2)
	v_fma_f64 v[3:4], -v[3:4], v[54:55], v[60:61]
	v_fma_f64 v[46:47], -v[46:47], v[62:63], v[52:53]
	s_delay_alu instid0(VALU_DEP_2) | instskip(SKIP_1) | instid1(VALU_DEP_2)
	v_div_fmas_f64 v[3:4], v[3:4], v[48:49], v[54:55]
	s_mov_b32 vcc_lo, s3
	v_div_fmas_f64 v[46:47], v[46:47], v[50:51], v[62:63]
	s_delay_alu instid0(VALU_DEP_2) | instskip(NEXT) | instid1(VALU_DEP_2)
	v_div_fixup_f64 v[3:4], v[3:4], v[1:2], v[38:39]
	v_div_fixup_f64 v[46:47], v[46:47], v[1:2], v[40:41]
	s_delay_alu instid0(VALU_DEP_1) | instskip(NEXT) | instid1(VALU_DEP_1)
	v_mul_f64 v[38:39], v[40:41], v[46:47]
	v_fma_f64 v[3:4], v[44:45], v[3:4], -v[38:39]
.LBB22_194:                             ;   in Loop: Header=BB22_137 Depth=2
	s_or_b32 exec_lo, exec_lo, s63
                                        ; implicit-def: $vgpr46_vgpr47
                                        ; implicit-def: $vgpr38_vgpr39
                                        ; implicit-def: $vgpr40_vgpr41
                                        ; implicit-def: $vgpr44_vgpr45
.LBB22_195:                             ;   in Loop: Header=BB22_137 Depth=2
	s_and_not1_saveexec_b32 s62, s62
	s_cbranch_execz .LBB22_197
; %bb.196:                              ;   in Loop: Header=BB22_137 Depth=2
	v_add_f64 v[1:2], v[46:47], -v[42:43]
	v_mov_b32_e32 v9, -1
	s_delay_alu instid0(VALU_DEP_2) | instskip(NEXT) | instid1(VALU_DEP_1)
	v_mul_f64 v[1:2], v[1:2], 0.5
	v_div_scale_f64 v[3:4], null, v[1:2], v[1:2], v[38:39]
	v_div_scale_f64 v[46:47], null, v[1:2], v[1:2], v[40:41]
	v_div_scale_f64 v[60:61], vcc_lo, v[38:39], v[1:2], v[38:39]
	s_delay_alu instid0(VALU_DEP_3) | instskip(NEXT) | instid1(VALU_DEP_2)
	v_rcp_f64_e32 v[48:49], v[3:4]
	v_rcp_f64_e32 v[50:51], v[46:47]
	s_waitcnt_depctr 0xfff
	v_fma_f64 v[52:53], -v[3:4], v[48:49], 1.0
	v_fma_f64 v[54:55], -v[46:47], v[50:51], 1.0
	s_delay_alu instid0(VALU_DEP_2) | instskip(NEXT) | instid1(VALU_DEP_2)
	v_fma_f64 v[48:49], v[48:49], v[52:53], v[48:49]
	v_fma_f64 v[50:51], v[50:51], v[54:55], v[50:51]
	s_delay_alu instid0(VALU_DEP_2) | instskip(NEXT) | instid1(VALU_DEP_2)
	v_fma_f64 v[52:53], -v[3:4], v[48:49], 1.0
	v_fma_f64 v[54:55], -v[46:47], v[50:51], 1.0
	s_delay_alu instid0(VALU_DEP_2) | instskip(SKIP_1) | instid1(VALU_DEP_3)
	v_fma_f64 v[48:49], v[48:49], v[52:53], v[48:49]
	v_div_scale_f64 v[52:53], s3, v[40:41], v[1:2], v[40:41]
	v_fma_f64 v[50:51], v[50:51], v[54:55], v[50:51]
	s_delay_alu instid0(VALU_DEP_3) | instskip(NEXT) | instid1(VALU_DEP_2)
	v_mul_f64 v[54:55], v[60:61], v[48:49]
	v_mul_f64 v[62:63], v[52:53], v[50:51]
	s_delay_alu instid0(VALU_DEP_2) | instskip(NEXT) | instid1(VALU_DEP_2)
	v_fma_f64 v[3:4], -v[3:4], v[54:55], v[60:61]
	v_fma_f64 v[46:47], -v[46:47], v[62:63], v[52:53]
	s_delay_alu instid0(VALU_DEP_2) | instskip(SKIP_1) | instid1(VALU_DEP_2)
	v_div_fmas_f64 v[3:4], v[3:4], v[48:49], v[54:55]
	s_mov_b32 vcc_lo, s3
	v_div_fmas_f64 v[46:47], v[46:47], v[50:51], v[62:63]
	s_delay_alu instid0(VALU_DEP_2) | instskip(NEXT) | instid1(VALU_DEP_2)
	v_div_fixup_f64 v[3:4], v[3:4], v[1:2], v[38:39]
	v_div_fixup_f64 v[46:47], v[46:47], v[1:2], v[40:41]
	s_delay_alu instid0(VALU_DEP_1) | instskip(NEXT) | instid1(VALU_DEP_1)
	v_mul_f64 v[38:39], v[40:41], v[46:47]
	v_fma_f64 v[3:4], v[44:45], v[3:4], -v[38:39]
.LBB22_197:                             ;   in Loop: Header=BB22_137 Depth=2
	s_or_b32 exec_lo, exec_lo, s62
	s_delay_alu instid0(SALU_CYCLE_1)
	s_mov_b32 s62, exec_lo
                                        ; implicit-def: $vgpr38_vgpr39
                                        ; implicit-def: $sgpr3
	v_cmpx_le_f64_e32 0, v[36:37]
	s_xor_b32 s62, exec_lo, s62
; %bb.198:                              ;   in Loop: Header=BB22_137 Depth=2
	v_add_f64 v[38:39], v[36:37], v[42:43]
	s_mov_b32 s3, 1
                                        ; implicit-def: $vgpr36_vgpr37
                                        ; implicit-def: $vgpr42_vgpr43
; %bb.199:                              ;   in Loop: Header=BB22_137 Depth=2
	s_or_saveexec_b32 s62, s62
	v_mov_b32_e32 v29, s3
	s_xor_b32 exec_lo, exec_lo, s62
; %bb.200:                              ;   in Loop: Header=BB22_137 Depth=2
	v_add_f64 v[38:39], v[36:37], -v[42:43]
	v_mov_b32_e32 v29, -1
; %bb.201:                              ;   in Loop: Header=BB22_137 Depth=2
	s_or_b32 exec_lo, exec_lo, s62
	s_delay_alu instid0(VALU_DEP_2) | instskip(NEXT) | instid1(VALU_DEP_1)
	v_cmp_ngt_f64_e64 s3, |v[38:39]|, |v[34:35]|
                                        ; implicit-def: $vgpr36_vgpr37
                                        ; implicit-def: $vgpr40_vgpr41
	s_and_saveexec_b32 s62, s3
	s_delay_alu instid0(SALU_CYCLE_1)
	s_xor_b32 s3, exec_lo, s62
	s_cbranch_execz .LBB22_205
; %bb.202:                              ;   in Loop: Header=BB22_137 Depth=2
	v_mov_b32_e32 v36, 0
	v_dual_mov_b32 v37, 0 :: v_dual_mov_b32 v40, 0
	v_mov_b32_e32 v41, 0x3ff00000
	s_mov_b32 s62, exec_lo
	v_cmpx_neq_f64_e32 0, v[34:35]
	s_cbranch_execz .LBB22_204
; %bb.203:                              ;   in Loop: Header=BB22_137 Depth=2
	v_div_scale_f64 v[36:37], null, v[34:35], v[34:35], -v[38:39]
	v_div_scale_f64 v[44:45], vcc_lo, -v[38:39], v[34:35], -v[38:39]
	s_delay_alu instid0(VALU_DEP_2) | instskip(SKIP_2) | instid1(VALU_DEP_1)
	v_rcp_f64_e32 v[40:41], v[36:37]
	s_waitcnt_depctr 0xfff
	v_fma_f64 v[42:43], -v[36:37], v[40:41], 1.0
	v_fma_f64 v[40:41], v[40:41], v[42:43], v[40:41]
	s_delay_alu instid0(VALU_DEP_1) | instskip(NEXT) | instid1(VALU_DEP_1)
	v_fma_f64 v[42:43], -v[36:37], v[40:41], 1.0
	v_fma_f64 v[40:41], v[40:41], v[42:43], v[40:41]
	s_delay_alu instid0(VALU_DEP_1) | instskip(NEXT) | instid1(VALU_DEP_1)
	v_mul_f64 v[42:43], v[44:45], v[40:41]
	v_fma_f64 v[36:37], -v[36:37], v[42:43], v[44:45]
	s_delay_alu instid0(VALU_DEP_1) | instskip(NEXT) | instid1(VALU_DEP_1)
	v_div_fmas_f64 v[36:37], v[36:37], v[40:41], v[42:43]
	v_div_fixup_f64 v[34:35], v[36:37], v[34:35], -v[38:39]
	s_delay_alu instid0(VALU_DEP_1) | instskip(NEXT) | instid1(VALU_DEP_1)
	v_fma_f64 v[36:37], v[34:35], v[34:35], 1.0
	v_cmp_gt_f64_e32 vcc_lo, 0x10000000, v[36:37]
	v_cndmask_b32_e64 v38, 0, 1, vcc_lo
	s_delay_alu instid0(VALU_DEP_1) | instskip(NEXT) | instid1(VALU_DEP_1)
	v_lshlrev_b32_e32 v38, 8, v38
	v_ldexp_f64 v[36:37], v[36:37], v38
	s_delay_alu instid0(VALU_DEP_1) | instskip(SKIP_3) | instid1(VALU_DEP_1)
	v_rsq_f64_e32 v[38:39], v[36:37]
	s_waitcnt_depctr 0xfff
	v_mul_f64 v[40:41], v[36:37], v[38:39]
	v_mul_f64 v[38:39], v[38:39], 0.5
	v_fma_f64 v[42:43], -v[38:39], v[40:41], 0.5
	s_delay_alu instid0(VALU_DEP_1) | instskip(SKIP_1) | instid1(VALU_DEP_2)
	v_fma_f64 v[40:41], v[40:41], v[42:43], v[40:41]
	v_fma_f64 v[38:39], v[38:39], v[42:43], v[38:39]
	v_fma_f64 v[42:43], -v[40:41], v[40:41], v[36:37]
	s_delay_alu instid0(VALU_DEP_1) | instskip(NEXT) | instid1(VALU_DEP_1)
	v_fma_f64 v[40:41], v[42:43], v[38:39], v[40:41]
	v_fma_f64 v[42:43], -v[40:41], v[40:41], v[36:37]
	s_delay_alu instid0(VALU_DEP_1) | instskip(SKIP_2) | instid1(VALU_DEP_2)
	v_fma_f64 v[38:39], v[42:43], v[38:39], v[40:41]
	v_cndmask_b32_e64 v40, 0, 0xffffff80, vcc_lo
	v_cmp_class_f64_e64 vcc_lo, v[36:37], 0x260
	v_ldexp_f64 v[38:39], v[38:39], v40
	s_delay_alu instid0(VALU_DEP_1) | instskip(NEXT) | instid1(VALU_DEP_1)
	v_dual_cndmask_b32 v37, v39, v37 :: v_dual_cndmask_b32 v36, v38, v36
	v_div_scale_f64 v[38:39], null, v[36:37], v[36:37], 1.0
	s_delay_alu instid0(VALU_DEP_1) | instskip(SKIP_2) | instid1(VALU_DEP_1)
	v_rcp_f64_e32 v[40:41], v[38:39]
	s_waitcnt_depctr 0xfff
	v_fma_f64 v[42:43], -v[38:39], v[40:41], 1.0
	v_fma_f64 v[40:41], v[40:41], v[42:43], v[40:41]
	s_delay_alu instid0(VALU_DEP_1) | instskip(NEXT) | instid1(VALU_DEP_1)
	v_fma_f64 v[42:43], -v[38:39], v[40:41], 1.0
	v_fma_f64 v[40:41], v[40:41], v[42:43], v[40:41]
	v_div_scale_f64 v[42:43], vcc_lo, 1.0, v[36:37], 1.0
	s_delay_alu instid0(VALU_DEP_1) | instskip(NEXT) | instid1(VALU_DEP_1)
	v_mul_f64 v[44:45], v[42:43], v[40:41]
	v_fma_f64 v[38:39], -v[38:39], v[44:45], v[42:43]
	s_delay_alu instid0(VALU_DEP_1) | instskip(NEXT) | instid1(VALU_DEP_1)
	v_div_fmas_f64 v[38:39], v[38:39], v[40:41], v[44:45]
	v_div_fixup_f64 v[40:41], v[38:39], v[36:37], 1.0
	s_delay_alu instid0(VALU_DEP_1)
	v_mul_f64 v[36:37], v[34:35], v[40:41]
.LBB22_204:                             ;   in Loop: Header=BB22_137 Depth=2
	s_or_b32 exec_lo, exec_lo, s62
                                        ; implicit-def: $vgpr38_vgpr39
                                        ; implicit-def: $vgpr34_vgpr35
.LBB22_205:                             ;   in Loop: Header=BB22_137 Depth=2
	s_and_not1_saveexec_b32 s3, s3
	s_cbranch_execz .LBB22_207
; %bb.206:                              ;   in Loop: Header=BB22_137 Depth=2
	v_div_scale_f64 v[36:37], null, v[38:39], v[38:39], -v[34:35]
	v_div_scale_f64 v[44:45], vcc_lo, -v[34:35], v[38:39], -v[34:35]
	s_delay_alu instid0(VALU_DEP_2) | instskip(SKIP_2) | instid1(VALU_DEP_1)
	v_rcp_f64_e32 v[40:41], v[36:37]
	s_waitcnt_depctr 0xfff
	v_fma_f64 v[42:43], -v[36:37], v[40:41], 1.0
	v_fma_f64 v[40:41], v[40:41], v[42:43], v[40:41]
	s_delay_alu instid0(VALU_DEP_1) | instskip(NEXT) | instid1(VALU_DEP_1)
	v_fma_f64 v[42:43], -v[36:37], v[40:41], 1.0
	v_fma_f64 v[40:41], v[40:41], v[42:43], v[40:41]
	s_delay_alu instid0(VALU_DEP_1) | instskip(NEXT) | instid1(VALU_DEP_1)
	v_mul_f64 v[42:43], v[44:45], v[40:41]
	v_fma_f64 v[36:37], -v[36:37], v[42:43], v[44:45]
	s_delay_alu instid0(VALU_DEP_1) | instskip(NEXT) | instid1(VALU_DEP_1)
	v_div_fmas_f64 v[36:37], v[36:37], v[40:41], v[42:43]
	v_div_fixup_f64 v[34:35], v[36:37], v[38:39], -v[34:35]
	s_delay_alu instid0(VALU_DEP_1) | instskip(NEXT) | instid1(VALU_DEP_1)
	v_fma_f64 v[36:37], v[34:35], v[34:35], 1.0
	v_cmp_gt_f64_e32 vcc_lo, 0x10000000, v[36:37]
	v_cndmask_b32_e64 v38, 0, 1, vcc_lo
	s_delay_alu instid0(VALU_DEP_1) | instskip(NEXT) | instid1(VALU_DEP_1)
	v_lshlrev_b32_e32 v38, 8, v38
	v_ldexp_f64 v[36:37], v[36:37], v38
	s_delay_alu instid0(VALU_DEP_1) | instskip(SKIP_3) | instid1(VALU_DEP_1)
	v_rsq_f64_e32 v[38:39], v[36:37]
	s_waitcnt_depctr 0xfff
	v_mul_f64 v[40:41], v[36:37], v[38:39]
	v_mul_f64 v[38:39], v[38:39], 0.5
	v_fma_f64 v[42:43], -v[38:39], v[40:41], 0.5
	s_delay_alu instid0(VALU_DEP_1) | instskip(SKIP_1) | instid1(VALU_DEP_2)
	v_fma_f64 v[40:41], v[40:41], v[42:43], v[40:41]
	v_fma_f64 v[38:39], v[38:39], v[42:43], v[38:39]
	v_fma_f64 v[42:43], -v[40:41], v[40:41], v[36:37]
	s_delay_alu instid0(VALU_DEP_1) | instskip(NEXT) | instid1(VALU_DEP_1)
	v_fma_f64 v[40:41], v[42:43], v[38:39], v[40:41]
	v_fma_f64 v[42:43], -v[40:41], v[40:41], v[36:37]
	s_delay_alu instid0(VALU_DEP_1) | instskip(SKIP_2) | instid1(VALU_DEP_2)
	v_fma_f64 v[38:39], v[42:43], v[38:39], v[40:41]
	v_cndmask_b32_e64 v40, 0, 0xffffff80, vcc_lo
	v_cmp_class_f64_e64 vcc_lo, v[36:37], 0x260
	v_ldexp_f64 v[38:39], v[38:39], v40
	s_delay_alu instid0(VALU_DEP_1) | instskip(NEXT) | instid1(VALU_DEP_1)
	v_dual_cndmask_b32 v37, v39, v37 :: v_dual_cndmask_b32 v36, v38, v36
	v_div_scale_f64 v[38:39], null, v[36:37], v[36:37], 1.0
	s_delay_alu instid0(VALU_DEP_1) | instskip(SKIP_2) | instid1(VALU_DEP_1)
	v_rcp_f64_e32 v[40:41], v[38:39]
	s_waitcnt_depctr 0xfff
	v_fma_f64 v[42:43], -v[38:39], v[40:41], 1.0
	v_fma_f64 v[40:41], v[40:41], v[42:43], v[40:41]
	s_delay_alu instid0(VALU_DEP_1) | instskip(NEXT) | instid1(VALU_DEP_1)
	v_fma_f64 v[42:43], -v[38:39], v[40:41], 1.0
	v_fma_f64 v[40:41], v[40:41], v[42:43], v[40:41]
	v_div_scale_f64 v[42:43], vcc_lo, 1.0, v[36:37], 1.0
	s_delay_alu instid0(VALU_DEP_1) | instskip(NEXT) | instid1(VALU_DEP_1)
	v_mul_f64 v[44:45], v[42:43], v[40:41]
	v_fma_f64 v[38:39], -v[38:39], v[44:45], v[42:43]
	s_delay_alu instid0(VALU_DEP_1) | instskip(NEXT) | instid1(VALU_DEP_1)
	v_div_fmas_f64 v[38:39], v[38:39], v[40:41], v[44:45]
	v_div_fixup_f64 v[36:37], v[38:39], v[36:37], 1.0
	s_delay_alu instid0(VALU_DEP_1)
	v_mul_f64 v[40:41], v[34:35], v[36:37]
.LBB22_207:                             ;   in Loop: Header=BB22_137 Depth=2
	s_or_b32 exec_lo, exec_lo, s3
	s_delay_alu instid0(VALU_DEP_1) | instskip(SKIP_2) | instid1(VALU_DEP_1)
	v_xor_b32_e32 v34, 0x80000000, v37
	v_cmp_eq_u32_e32 vcc_lo, v9, v29
	v_add_co_u32 v32, s3, s77, v32
	v_add_co_ci_u32_e64 v33, s3, s78, v33, s3
	s_delay_alu instid0(VALU_DEP_4) | instskip(SKIP_1) | instid1(VALU_DEP_4)
	v_dual_cndmask_b32 v35, v41, v34 :: v_dual_cndmask_b32 v34, v40, v36
	v_dual_cndmask_b32 v37, v37, v41 :: v_dual_cndmask_b32 v36, v36, v40
	v_add_co_u32 v38, vcc_lo, v32, s48
	s_delay_alu instid0(VALU_DEP_4)
	v_add_co_ci_u32_e32 v39, vcc_lo, s49, v33, vcc_lo
	v_dual_mov_b32 v9, v8 :: v_dual_add_nc_u32 v26, -2, v26
	v_add_co_u32 v29, vcc_lo, s44, v30
	v_add_co_ci_u32_e32 v30, vcc_lo, s45, v31, vcc_lo
	s_clause 0x1
	global_store_b64 v[32:33], v[34:35], off
	global_store_b64 v[38:39], v[36:37], off offset:-8
	global_store_b128 v[27:28], v[1:4], off offset:-8
	global_store_b64 v[29:30], v[8:9], off
	ds_store_b32 v8, v26 offset:16
	s_or_b32 exec_lo, exec_lo, s60
                                        ; implicit-def: $vgpr2
.LBB22_208:                             ;   in Loop: Header=BB22_137 Depth=2
	s_and_not1_saveexec_b32 s3, s37
	s_cbranch_execz .LBB22_210
.LBB22_209:                             ;   in Loop: Header=BB22_137 Depth=2
	ds_store_b32 v8, v2 offset:16
.LBB22_210:                             ;   in Loop: Header=BB22_137 Depth=2
	s_or_b32 exec_lo, exec_lo, s3
.LBB22_211:                             ;   in Loop: Header=BB22_137 Depth=2
	s_delay_alu instid0(SALU_CYCLE_1)
	s_or_b32 exec_lo, exec_lo, s5
	s_waitcnt lgkmcnt(0)
	s_waitcnt_vscnt null, 0x0
	s_barrier
	buffer_gl0_inv
	ds_load_b64 v[1:2], v8 offset:16
	s_waitcnt lgkmcnt(0)
	v_readfirstlane_b32 s62, v2
	s_delay_alu instid0(VALU_DEP_1)
	v_cmp_eq_u32_e32 vcc_lo, s62, v1
	v_mov_b32_e32 v26, s62
	s_cbranch_vccnz .LBB22_136
; %bb.212:                              ;   in Loop: Header=BB22_137 Depth=2
	s_and_saveexec_b32 s5, s2
	s_cbranch_execz .LBB22_135
; %bb.213:                              ;   in Loop: Header=BB22_137 Depth=2
	ds_load_b32 v1, v8 offset:28
	s_ashr_i32 s63, s62, 31
	s_mul_i32 s64, s62, s11
	s_lshl_b64 s[66:67], s[62:63], 3
	v_mov_b32_e32 v28, v6
	s_waitcnt lgkmcnt(0)
	v_readfirstlane_b32 s3, v1
	s_delay_alu instid0(VALU_DEP_1)
	s_sub_i32 s37, s3, s62
	s_add_u32 s62, s77, s66
	s_addc_u32 s63, s78, s67
	s_ashr_i32 s65, s64, 31
	s_mul_hi_i32 s69, s37, s42
	s_lshl_b64 s[64:65], s[64:65], 4
	s_mul_i32 s68, s37, s42
	s_add_u32 s60, s75, s64
	s_addc_u32 s66, s76, s65
	s_cmp_gt_i32 s37, 0
	v_add_co_u32 v26, vcc_lo, v7, s64
	v_add_co_ci_u32_e32 v27, vcc_lo, s65, v57, vcc_lo
	s_cselect_b32 s67, -1, 0
	s_lshl_b64 s[64:65], s[68:69], 4
	s_mov_b32 s68, 0
	s_add_u32 s69, s60, s64
	s_addc_u32 s70, s66, s65
	s_branch .LBB22_215
.LBB22_214:                             ;   in Loop: Header=BB22_215 Depth=3
	v_add_nc_u32_e32 v28, s34, v28
	v_add_co_u32 v29, vcc_lo, s69, v29
	v_add_co_ci_u32_e32 v30, vcc_lo, s70, v30, vcc_lo
	s_delay_alu instid0(VALU_DEP_3) | instskip(SKIP_1) | instid1(VALU_DEP_1)
	v_cmp_le_i32_e32 vcc_lo, s6, v28
	v_add_co_u32 v26, s3, v26, s56
	v_add_co_ci_u32_e64 v27, s3, s57, v27, s3
	s_or_b32 s68, vcc_lo, s68
	s_waitcnt vmcnt(0)
	global_store_b128 v[29:30], v[1:4], off
	s_and_not1_b32 exec_lo, exec_lo, s68
	s_cbranch_execz .LBB22_135
.LBB22_215:                             ;   Parent Loop BB22_7 Depth=1
                                        ;     Parent Loop BB22_137 Depth=2
                                        ; =>    This Loop Header: Depth=3
                                        ;         Child Loop BB22_216 Depth 4
	v_ashrrev_i32_e32 v29, 31, v28
	v_dual_mov_b32 v32, v27 :: v_dual_mov_b32 v31, v26
	s_mov_b64 s[64:65], s[62:63]
	s_mov_b32 s3, s37
	s_delay_alu instid0(VALU_DEP_2) | instskip(NEXT) | instid1(VALU_DEP_1)
	v_lshlrev_b64 v[29:30], 4, v[28:29]
	v_add_co_u32 v1, vcc_lo, s60, v29
	s_delay_alu instid0(VALU_DEP_2)
	v_add_co_ci_u32_e32 v2, vcc_lo, s66, v30, vcc_lo
	s_and_not1_b32 vcc_lo, exec_lo, s67
	global_load_b128 v[1:4], v[1:2], off
	s_cbranch_vccnz .LBB22_214
	.p2align	6
.LBB22_216:                             ;   Parent Loop BB22_7 Depth=1
                                        ;     Parent Loop BB22_137 Depth=2
                                        ;       Parent Loop BB22_215 Depth=3
                                        ; =>      This Inner Loop Header: Depth=4
	s_delay_alu instid0(VALU_DEP_1) | instskip(NEXT) | instid1(VALU_DEP_2)
	v_add_co_u32 v41, vcc_lo, v31, s54
	v_add_co_ci_u32_e32 v42, vcc_lo, s55, v32, vcc_lo
	s_add_u32 s72, s64, s7
	s_addc_u32 s73, s65, s83
	global_load_b64 v[37:38], v8, s[72:73]
	global_load_b128 v[33:36], v[41:42], off offset:-8
	global_load_b64 v[43:44], v8, s[64:65]
	s_add_i32 s3, s3, -1
	s_add_u32 s64, s64, 8
	s_addc_u32 s65, s65, 0
	s_cmp_eq_u32 s3, 0
	s_waitcnt vmcnt(2)
	v_mul_f64 v[47:48], v[1:2], v[37:38]
	s_waitcnt vmcnt(1)
	v_mul_f64 v[39:40], v[37:38], v[33:34]
	v_mul_f64 v[45:46], v[37:38], v[35:36]
	v_mul_f64 v[49:50], v[3:4], v[37:38]
	s_waitcnt vmcnt(0)
	s_delay_alu instid0(VALU_DEP_3) | instskip(NEXT) | instid1(VALU_DEP_3)
	v_fma_f64 v[37:38], v[1:2], v[43:44], v[39:40]
	v_fma_f64 v[39:40], v[3:4], v[43:44], v[45:46]
	v_fma_f64 v[1:2], v[43:44], v[33:34], -v[47:48]
	s_delay_alu instid0(VALU_DEP_4)
	v_fma_f64 v[3:4], v[43:44], v[35:36], -v[49:50]
	global_store_b128 v[31:32], v[37:40], off offset:-8
	v_dual_mov_b32 v31, v41 :: v_dual_mov_b32 v32, v42
	s_cbranch_scc0 .LBB22_216
	s_branch .LBB22_214
.LBB22_217:                             ;   in Loop: Header=BB22_137 Depth=2
	s_or_b32 exec_lo, exec_lo, s60
                                        ; implicit-def: $vgpr2
	s_and_not1_saveexec_b32 s3, s37
	s_cbranch_execnz .LBB22_209
	s_branch .LBB22_210
.LBB22_218:                             ;   in Loop: Header=BB22_7 Depth=1
	v_mov_b32_e32 v31, v23
	v_dual_mov_b32 v33, v25 :: v_dual_mov_b32 v32, v24
	v_dual_mov_b32 v27, v59 :: v_dual_mov_b32 v30, v22
.LBB22_219:                             ;   in Loop: Header=BB22_7 Depth=1
	s_barrier
	buffer_gl0_inv
	ds_load_b64 v[1:2], v8 offset:8
	s_waitcnt lgkmcnt(0)
	v_cmp_nlt_f64_e32 vcc_lo, s[40:41], v[1:2]
	s_cbranch_vccnz .LBB22_226
; %bb.220:                              ;   in Loop: Header=BB22_7 Depth=1
	v_div_scale_f64 v[3:4], null, v[1:2], v[1:2], s[40:41]
	s_delay_alu instid0(VALU_DEP_1) | instskip(SKIP_2) | instid1(VALU_DEP_1)
	v_rcp_f64_e32 v[22:23], v[3:4]
	s_waitcnt_depctr 0xfff
	v_fma_f64 v[24:25], -v[3:4], v[22:23], 1.0
	v_fma_f64 v[22:23], v[22:23], v[24:25], v[22:23]
	s_delay_alu instid0(VALU_DEP_1) | instskip(NEXT) | instid1(VALU_DEP_1)
	v_fma_f64 v[24:25], -v[3:4], v[22:23], 1.0
	v_fma_f64 v[22:23], v[22:23], v[24:25], v[22:23]
	v_div_scale_f64 v[24:25], vcc_lo, s[40:41], v[1:2], s[40:41]
	s_delay_alu instid0(VALU_DEP_1) | instskip(NEXT) | instid1(VALU_DEP_1)
	v_mul_f64 v[28:29], v[24:25], v[22:23]
	v_fma_f64 v[3:4], -v[3:4], v[28:29], v[24:25]
	s_delay_alu instid0(VALU_DEP_1)
	v_div_fmas_f64 v[3:4], v[3:4], v[22:23], v[28:29]
	ds_load_2addr_b32 v[22:23], v8 offset0:7 offset1:10
	v_div_fixup_f64 v[3:4], v[3:4], v[1:2], s[40:41]
	s_and_saveexec_b32 s3, s4
	s_cbranch_execz .LBB22_222
; %bb.221:                              ;   in Loop: Header=BB22_7 Depth=1
	s_waitcnt lgkmcnt(0)
	v_ashrrev_i32_e32 v25, 31, v23
	v_mov_b32_e32 v24, v23
	s_delay_alu instid0(VALU_DEP_1) | instskip(NEXT) | instid1(VALU_DEP_1)
	v_lshlrev_b64 v[24:25], 3, v[24:25]
	v_add_co_u32 v24, vcc_lo, s18, v24
	s_delay_alu instid0(VALU_DEP_2)
	v_add_co_ci_u32_e32 v25, vcc_lo, s19, v25, vcc_lo
	global_load_b64 v[28:29], v[24:25], off
	s_waitcnt vmcnt(0)
	v_mul_f64 v[28:29], v[3:4], v[28:29]
	global_store_b64 v[24:25], v[28:29], off
.LBB22_222:                             ;   in Loop: Header=BB22_7 Depth=1
	s_or_b32 exec_lo, exec_lo, s3
	s_waitcnt lgkmcnt(0)
	v_add_nc_u32_e32 v24, v22, v6
	s_mov_b32 s5, exec_lo
	s_delay_alu instid0(VALU_DEP_1)
	v_cmpx_lt_i32_e64 v24, v23
	s_cbranch_execz .LBB22_225
; %bb.223:                              ;   in Loop: Header=BB22_7 Depth=1
	v_ashrrev_i32_e32 v25, 31, v24
	s_mov_b32 s37, 0
	s_delay_alu instid0(VALU_DEP_1)
	v_lshlrev_b64 v[25:26], 3, v[24:25]
	.p2align	6
.LBB22_224:                             ;   Parent Loop BB22_7 Depth=1
                                        ; =>  This Inner Loop Header: Depth=2
	s_delay_alu instid0(VALU_DEP_1) | instskip(NEXT) | instid1(VALU_DEP_2)
	v_add_co_u32 v28, vcc_lo, s18, v25
	v_add_co_ci_u32_e32 v29, vcc_lo, s19, v26, vcc_lo
	v_add_co_u32 v36, vcc_lo, s10, v25
	v_add_co_ci_u32_e32 v37, vcc_lo, s74, v26, vcc_lo
	global_load_b64 v[34:35], v[28:29], off
	v_add_nc_u32_e32 v24, s34, v24
	v_add_co_u32 v25, s3, v25, s50
	s_delay_alu instid0(VALU_DEP_1) | instskip(NEXT) | instid1(VALU_DEP_3)
	v_add_co_ci_u32_e64 v26, s3, s51, v26, s3
	v_cmp_ge_i32_e32 vcc_lo, v24, v23
	s_or_b32 s37, vcc_lo, s37
	s_waitcnt vmcnt(0)
	v_mul_f64 v[34:35], v[3:4], v[34:35]
	global_store_b64 v[28:29], v[34:35], off
	global_load_b64 v[28:29], v[36:37], off
	s_waitcnt vmcnt(0)
	v_mul_f64 v[28:29], v[3:4], v[28:29]
	global_store_b64 v[36:37], v[28:29], off
	s_and_not1_b32 exec_lo, exec_lo, s37
	s_cbranch_execnz .LBB22_224
.LBB22_225:                             ;   in Loop: Header=BB22_7 Depth=1
	s_or_b32 exec_lo, exec_lo, s5
.LBB22_226:                             ;   in Loop: Header=BB22_7 Depth=1
	v_cmp_ngt_f64_e32 vcc_lo, s[26:27], v[1:2]
	s_cbranch_vccnz .LBB22_5
; %bb.227:                              ;   in Loop: Header=BB22_7 Depth=1
	v_div_scale_f64 v[3:4], null, v[1:2], v[1:2], s[26:27]
	s_delay_alu instid0(VALU_DEP_1) | instskip(SKIP_2) | instid1(VALU_DEP_1)
	v_rcp_f64_e32 v[22:23], v[3:4]
	s_waitcnt_depctr 0xfff
	v_fma_f64 v[24:25], -v[3:4], v[22:23], 1.0
	v_fma_f64 v[22:23], v[22:23], v[24:25], v[22:23]
	s_delay_alu instid0(VALU_DEP_1) | instskip(NEXT) | instid1(VALU_DEP_1)
	v_fma_f64 v[24:25], -v[3:4], v[22:23], 1.0
	v_fma_f64 v[22:23], v[22:23], v[24:25], v[22:23]
	v_div_scale_f64 v[24:25], vcc_lo, s[26:27], v[1:2], s[26:27]
	s_delay_alu instid0(VALU_DEP_1) | instskip(NEXT) | instid1(VALU_DEP_1)
	v_mul_f64 v[28:29], v[24:25], v[22:23]
	v_fma_f64 v[3:4], -v[3:4], v[28:29], v[24:25]
	s_delay_alu instid0(VALU_DEP_1) | instskip(NEXT) | instid1(VALU_DEP_1)
	v_div_fmas_f64 v[3:4], v[3:4], v[22:23], v[28:29]
	v_div_fixup_f64 v[1:2], v[3:4], v[1:2], s[26:27]
	ds_load_2addr_b32 v[3:4], v8 offset0:7 offset1:10
	s_and_saveexec_b32 s3, s4
	s_cbranch_execz .LBB22_229
; %bb.228:                              ;   in Loop: Header=BB22_7 Depth=1
	s_waitcnt lgkmcnt(0)
	v_ashrrev_i32_e32 v23, 31, v4
	v_mov_b32_e32 v22, v4
	s_delay_alu instid0(VALU_DEP_1) | instskip(NEXT) | instid1(VALU_DEP_1)
	v_lshlrev_b64 v[22:23], 3, v[22:23]
	v_add_co_u32 v22, vcc_lo, s18, v22
	s_delay_alu instid0(VALU_DEP_2)
	v_add_co_ci_u32_e32 v23, vcc_lo, s19, v23, vcc_lo
	global_load_b64 v[24:25], v[22:23], off
	s_waitcnt vmcnt(0)
	v_mul_f64 v[24:25], v[1:2], v[24:25]
	global_store_b64 v[22:23], v[24:25], off
.LBB22_229:                             ;   in Loop: Header=BB22_7 Depth=1
	s_or_b32 exec_lo, exec_lo, s3
	s_waitcnt lgkmcnt(0)
	v_add_nc_u32_e32 v22, v3, v6
	s_mov_b32 s5, exec_lo
	s_delay_alu instid0(VALU_DEP_1)
	v_cmpx_lt_i32_e64 v22, v4
	s_cbranch_execz .LBB22_4
; %bb.230:                              ;   in Loop: Header=BB22_7 Depth=1
	v_ashrrev_i32_e32 v23, 31, v22
	s_mov_b32 s37, 0
	s_delay_alu instid0(VALU_DEP_1)
	v_lshlrev_b64 v[23:24], 3, v[22:23]
	.p2align	6
.LBB22_231:                             ;   Parent Loop BB22_7 Depth=1
                                        ; =>  This Inner Loop Header: Depth=2
	s_delay_alu instid0(VALU_DEP_1) | instskip(NEXT) | instid1(VALU_DEP_2)
	v_add_co_u32 v25, vcc_lo, s18, v23
	v_add_co_ci_u32_e32 v26, vcc_lo, s19, v24, vcc_lo
	v_add_co_u32 v34, vcc_lo, s10, v23
	v_add_co_ci_u32_e32 v35, vcc_lo, s74, v24, vcc_lo
	global_load_b64 v[28:29], v[25:26], off
	v_add_nc_u32_e32 v22, s34, v22
	v_add_co_u32 v23, s3, v23, s50
	s_delay_alu instid0(VALU_DEP_1) | instskip(NEXT) | instid1(VALU_DEP_3)
	v_add_co_ci_u32_e64 v24, s3, s51, v24, s3
	v_cmp_ge_i32_e32 vcc_lo, v22, v4
	s_or_b32 s37, vcc_lo, s37
	s_waitcnt vmcnt(0)
	v_mul_f64 v[28:29], v[1:2], v[28:29]
	global_store_b64 v[25:26], v[28:29], off
	global_load_b64 v[25:26], v[34:35], off
	s_waitcnt vmcnt(0)
	v_mul_f64 v[25:26], v[1:2], v[25:26]
	global_store_b64 v[34:35], v[25:26], off
	s_and_not1_b32 exec_lo, exec_lo, s37
	s_cbranch_execnz .LBB22_231
	s_branch .LBB22_4
.LBB22_232:
	s_mov_b32 s3, exec_lo
	v_cmpx_gt_i32_e64 s36, v6
	s_cbranch_execz .LBB22_238
; %bb.233:
	v_ashrrev_i32_e32 v7, 31, v6
	s_lshl_b64 s[24:25], s[28:29], 2
	v_mov_b32_e32 v3, 0
	s_add_u32 s14, s14, s24
	s_addc_u32 s15, s15, s25
	v_lshlrev_b64 v[1:2], 3, v[6:7]
	s_lshl_b64 s[24:25], s[38:39], 3
	s_delay_alu instid0(SALU_CYCLE_1) | instskip(SKIP_2) | instid1(VALU_DEP_1)
	s_add_u32 s2, s20, s24
	s_addc_u32 s5, s21, s25
	s_ashr_i32 s35, s34, 31
	v_add_co_u32 v1, vcc_lo, s2, v1
	v_add_co_ci_u32_e32 v2, vcc_lo, s5, v2, vcc_lo
	s_lshl_b64 s[20:21], s[34:35], 3
	s_mov_b32 s5, 0
	s_set_inst_prefetch_distance 0x1
	s_branch .LBB22_235
	.p2align	6
.LBB22_234:                             ;   in Loop: Header=BB22_235 Depth=1
	s_or_b32 exec_lo, exec_lo, s2
	v_add_nc_u32_e32 v6, s34, v6
	v_add_co_u32 v1, s2, v1, s20
	s_delay_alu instid0(VALU_DEP_1) | instskip(NEXT) | instid1(VALU_DEP_3)
	v_add_co_ci_u32_e64 v2, s2, s21, v2, s2
	v_cmp_le_i32_e32 vcc_lo, s36, v6
	s_or_b32 s5, vcc_lo, s5
	s_delay_alu instid0(SALU_CYCLE_1)
	s_and_not1_b32 exec_lo, exec_lo, s5
	s_cbranch_execz .LBB22_238
.LBB22_235:                             ; =>This Inner Loop Header: Depth=1
	global_load_b64 v[7:8], v[1:2], off
	s_mov_b32 s2, exec_lo
	s_waitcnt vmcnt(0)
	v_cmpx_neq_f64_e32 0, v[7:8]
	s_cbranch_execz .LBB22_234
; %bb.236:                              ;   in Loop: Header=BB22_235 Depth=1
	s_mov_b32 s7, exec_lo
	s_delay_alu instid0(SALU_CYCLE_1) | instskip(NEXT) | instid1(VALU_DEP_1)
	v_mbcnt_lo_u32_b32 v4, s7, 0
	v_cmp_eq_u32_e32 vcc_lo, 0, v4
	s_and_b32 s10, exec_lo, vcc_lo
	s_delay_alu instid0(SALU_CYCLE_1)
	s_mov_b32 exec_lo, s10
	s_cbranch_execz .LBB22_234
; %bb.237:                              ;   in Loop: Header=BB22_235 Depth=1
	s_bcnt1_i32_b32 s7, s7
	s_delay_alu instid0(SALU_CYCLE_1)
	v_mov_b32_e32 v4, s7
	global_atomic_add_u32 v3, v4, s[14:15]
	s_branch .LBB22_234
.LBB22_238:
	s_set_inst_prefetch_distance 0x2
	s_or_b32 exec_lo, exec_lo, s3
	s_cmp_lt_i32 s6, 2
	s_cbranch_scc1 .LBB22_251
; %bb.239:
	s_load_b64 s[0:1], s[0:1], 0x4
	v_bfe_u32 v1, v0, 10, 10
	v_bfe_u32 v0, v0, 20, 10
	v_mov_b32_e32 v7, 0
	s_waitcnt lgkmcnt(0)
	s_lshr_b32 s0, s0, 16
	v_mul_u32_u24_e32 v1, s1, v1
	s_mul_i32 s0, s0, s1
	s_add_u32 s5, s18, -8
	v_mul_lo_u32 v2, s0, v5
	s_addc_u32 s7, s19, -1
	s_add_u32 s0, s22, s16
	s_addc_u32 s1, s23, s17
	s_add_u32 s0, s0, 8
	s_addc_u32 s1, s1, 0
	s_lshl_b64 s[2:3], s[12:13], 4
	s_lshl_b64 s[12:13], s[30:31], 4
	v_add3_u32 v0, v2, v1, v0
	s_add_u32 s2, s2, s12
	s_addc_u32 s3, s3, s13
	s_add_u32 s10, s8, s2
	s_addc_u32 s16, s9, s3
	v_lshl_add_u32 v6, v0, 4, 48
	s_mov_b32 s2, 1
	s_branch .LBB22_241
.LBB22_240:                             ;   in Loop: Header=BB22_241 Depth=1
	s_add_i32 s2, s2, 1
	s_add_u32 s0, s0, 8
	s_addc_u32 s1, s1, 0
	s_cmp_lg_u32 s2, s6
	s_waitcnt lgkmcnt(0)
	s_waitcnt_vscnt null, 0x0
	s_barrier
	buffer_gl0_inv
	s_cbranch_scc0 .LBB22_251
.LBB22_241:                             ; =>This Loop Header: Depth=1
                                        ;     Child Loop BB22_244 Depth 2
                                        ;     Child Loop BB22_250 Depth 2
	s_and_saveexec_b32 s17, s4
	s_cbranch_execz .LBB22_248
; %bb.242:                              ;   in Loop: Header=BB22_241 Depth=1
	s_ashr_i32 s3, s2, 31
	s_mov_b64 s[14:15], s[0:1]
	s_lshl_b64 s[8:9], s[2:3], 3
	s_add_i32 s3, s2, -1
	s_add_u32 s8, s5, s8
	s_addc_u32 s9, s7, s9
	v_dual_mov_b32 v4, s3 :: v_dual_mov_b32 v5, s3
	global_load_b64 v[0:1], v7, s[8:9]
	s_mov_b32 s12, s3
	s_mov_b32 s13, s2
	s_waitcnt vmcnt(0)
	v_dual_mov_b32 v3, v1 :: v_dual_mov_b32 v2, v0
	ds_store_2addr_b64 v7, v[0:1], v[4:5] offset1:2
	s_branch .LBB22_244
	.p2align	6
.LBB22_243:                             ;   in Loop: Header=BB22_244 Depth=2
	s_add_i32 s13, s13, 1
	s_add_u32 s14, s14, 8
	s_addc_u32 s15, s15, 0
	s_cmp_ge_i32 s13, s6
	s_cbranch_scc1 .LBB22_246
.LBB22_244:                             ;   Parent Loop BB22_241 Depth=1
                                        ; =>  This Inner Loop Header: Depth=2
	global_load_b64 v[4:5], v7, s[14:15]
	s_waitcnt vmcnt(0)
	v_cmp_nlt_f64_e32 vcc_lo, v[4:5], v[2:3]
	s_cbranch_vccnz .LBB22_243
; %bb.245:                              ;   in Loop: Header=BB22_244 Depth=2
	v_mov_b32_e32 v2, v4
	v_dual_mov_b32 v8, s13 :: v_dual_mov_b32 v3, v5
	s_mov_b32 s12, s13
	ds_store_b32 v7, v8 offset:20
	ds_store_b64 v7, v[4:5]
	s_branch .LBB22_243
.LBB22_246:                             ;   in Loop: Header=BB22_241 Depth=1
	s_cmp_lg_u32 s12, s3
	s_cbranch_scc0 .LBB22_248
; %bb.247:                              ;   in Loop: Header=BB22_241 Depth=1
	s_ashr_i32 s13, s12, 31
	s_delay_alu instid0(SALU_CYCLE_1) | instskip(NEXT) | instid1(SALU_CYCLE_1)
	s_lshl_b64 s[12:13], s[12:13], 3
	s_add_u32 s12, s18, s12
	s_addc_u32 s13, s19, s13
	s_clause 0x1
	global_store_b64 v7, v[0:1], s[12:13]
	global_store_b64 v7, v[2:3], s[8:9]
.LBB22_248:                             ;   in Loop: Header=BB22_241 Depth=1
	s_or_b32 exec_lo, exec_lo, s17
	s_waitcnt lgkmcnt(0)
	s_waitcnt_vscnt null, 0x0
	s_barrier
	buffer_gl0_inv
	ds_load_b64 v[0:1], v7 offset:16
	s_waitcnt lgkmcnt(0)
	v_readfirstlane_b32 s3, v0
	v_readfirstlane_b32 s8, v1
	s_delay_alu instid0(VALU_DEP_1)
	s_cmp_eq_u32 s8, s3
	s_cbranch_scc1 .LBB22_240
; %bb.249:                              ;   in Loop: Header=BB22_241 Depth=1
	s_mul_i32 s8, s8, s11
	s_mul_i32 s12, s3, s11
	s_ashr_i32 s9, s8, 31
	s_mov_b32 s3, s6
	s_lshl_b64 s[8:9], s[8:9], 4
	s_delay_alu instid0(SALU_CYCLE_1) | instskip(SKIP_2) | instid1(SALU_CYCLE_1)
	s_add_u32 s8, s10, s8
	s_addc_u32 s9, s16, s9
	s_ashr_i32 s13, s12, 31
	s_lshl_b64 s[12:13], s[12:13], 4
	s_delay_alu instid0(SALU_CYCLE_1)
	s_add_u32 s12, s10, s12
	s_addc_u32 s13, s16, s13
	.p2align	6
.LBB22_250:                             ;   Parent Loop BB22_241 Depth=1
                                        ; =>  This Inner Loop Header: Depth=2
	s_clause 0x1
	global_load_b128 v[0:3], v7, s[8:9]
	global_load_b128 v[8:11], v7, s[12:13]
	s_add_i32 s3, s3, -1
	s_waitcnt vmcnt(1)
	global_store_b128 v7, v[0:3], s[12:13]
	s_waitcnt vmcnt(0)
	global_store_b128 v7, v[8:11], s[8:9]
	s_add_u32 s8, s8, 16
	s_addc_u32 s9, s9, 0
	s_add_u32 s12, s12, 16
	s_addc_u32 s13, s13, 0
	s_cmp_lg_u32 s3, 0
	ds_store_2addr_b64 v6, v[8:9], v[10:11] offset1:1
	s_cbranch_scc1 .LBB22_250
	s_branch .LBB22_240
.LBB22_251:
	s_nop 0
	s_sendmsg sendmsg(MSG_DEALLOC_VGPRS)
	s_endpgm
	.section	.rodata,"a",@progbits
	.p2align	6, 0x0
	.amdhsa_kernel _ZN9rocsolver6v33100L12steqr_kernelI19rocblas_complex_numIdEdPS3_EEviPT0_lS6_lT1_iilPiS6_iS5_S5_S5_
		.amdhsa_group_segment_fixed_size 16432
		.amdhsa_private_segment_fixed_size 0
		.amdhsa_kernarg_size 368
		.amdhsa_user_sgpr_count 14
		.amdhsa_user_sgpr_dispatch_ptr 1
		.amdhsa_user_sgpr_queue_ptr 0
		.amdhsa_user_sgpr_kernarg_segment_ptr 1
		.amdhsa_user_sgpr_dispatch_id 0
		.amdhsa_user_sgpr_private_segment_size 0
		.amdhsa_wavefront_size32 1
		.amdhsa_uses_dynamic_stack 0
		.amdhsa_enable_private_segment 0
		.amdhsa_system_sgpr_workgroup_id_x 1
		.amdhsa_system_sgpr_workgroup_id_y 1
		.amdhsa_system_sgpr_workgroup_id_z 0
		.amdhsa_system_sgpr_workgroup_info 0
		.amdhsa_system_vgpr_workitem_id 2
		.amdhsa_next_free_vgpr 70
		.amdhsa_next_free_sgpr 91
		.amdhsa_reserve_vcc 1
		.amdhsa_float_round_mode_32 0
		.amdhsa_float_round_mode_16_64 0
		.amdhsa_float_denorm_mode_32 3
		.amdhsa_float_denorm_mode_16_64 3
		.amdhsa_dx10_clamp 1
		.amdhsa_ieee_mode 1
		.amdhsa_fp16_overflow 0
		.amdhsa_workgroup_processor_mode 1
		.amdhsa_memory_ordered 1
		.amdhsa_forward_progress 0
		.amdhsa_shared_vgpr_count 0
		.amdhsa_exception_fp_ieee_invalid_op 0
		.amdhsa_exception_fp_denorm_src 0
		.amdhsa_exception_fp_ieee_div_zero 0
		.amdhsa_exception_fp_ieee_overflow 0
		.amdhsa_exception_fp_ieee_underflow 0
		.amdhsa_exception_fp_ieee_inexact 0
		.amdhsa_exception_int_div_zero 0
	.end_amdhsa_kernel
	.section	.text._ZN9rocsolver6v33100L12steqr_kernelI19rocblas_complex_numIdEdPS3_EEviPT0_lS6_lT1_iilPiS6_iS5_S5_S5_,"axG",@progbits,_ZN9rocsolver6v33100L12steqr_kernelI19rocblas_complex_numIdEdPS3_EEviPT0_lS6_lT1_iilPiS6_iS5_S5_S5_,comdat
.Lfunc_end22:
	.size	_ZN9rocsolver6v33100L12steqr_kernelI19rocblas_complex_numIdEdPS3_EEviPT0_lS6_lT1_iilPiS6_iS5_S5_S5_, .Lfunc_end22-_ZN9rocsolver6v33100L12steqr_kernelI19rocblas_complex_numIdEdPS3_EEviPT0_lS6_lT1_iilPiS6_iS5_S5_S5_
                                        ; -- End function
	.section	.AMDGPU.csdata,"",@progbits
; Kernel info:
; codeLenInByte = 17656
; NumSgprs: 93
; NumVgprs: 70
; ScratchSize: 0
; MemoryBound: 0
; FloatMode: 240
; IeeeMode: 1
; LDSByteSize: 16432 bytes/workgroup (compile time only)
; SGPRBlocks: 11
; VGPRBlocks: 8
; NumSGPRsForWavesPerEU: 93
; NumVGPRsForWavesPerEU: 70
; Occupancy: 16
; WaveLimiterHint : 0
; COMPUTE_PGM_RSRC2:SCRATCH_EN: 0
; COMPUTE_PGM_RSRC2:USER_SGPR: 14
; COMPUTE_PGM_RSRC2:TRAP_HANDLER: 0
; COMPUTE_PGM_RSRC2:TGID_X_EN: 1
; COMPUTE_PGM_RSRC2:TGID_Y_EN: 1
; COMPUTE_PGM_RSRC2:TGID_Z_EN: 0
; COMPUTE_PGM_RSRC2:TIDIG_COMP_CNT: 2
	.text
	.p2alignl 7, 3214868480
	.fill 96, 4, 3214868480
	.type	__hip_cuid_ebcc2506db04b7a4,@object ; @__hip_cuid_ebcc2506db04b7a4
	.section	.bss,"aw",@nobits
	.globl	__hip_cuid_ebcc2506db04b7a4
__hip_cuid_ebcc2506db04b7a4:
	.byte	0                               ; 0x0
	.size	__hip_cuid_ebcc2506db04b7a4, 1

	.ident	"AMD clang version 19.0.0git (https://github.com/RadeonOpenCompute/llvm-project roc-6.4.0 25133 c7fe45cf4b819c5991fe208aaa96edf142730f1d)"
	.section	".note.GNU-stack","",@progbits
	.addrsig
	.addrsig_sym __hip_cuid_ebcc2506db04b7a4
	.amdgpu_metadata
---
amdhsa.kernels:
  - .args:
      - .address_space:  global
        .offset:         0
        .size:           8
        .value_kind:     global_buffer
      - .offset:         8
        .size:           4
        .value_kind:     by_value
      - .offset:         12
        .size:           4
        .value_kind:     by_value
      - .offset:         16
        .size:           4
        .value_kind:     by_value
      - .offset:         24
        .size:           4
        .value_kind:     hidden_block_count_x
      - .offset:         28
        .size:           4
        .value_kind:     hidden_block_count_y
      - .offset:         32
        .size:           4
        .value_kind:     hidden_block_count_z
      - .offset:         36
        .size:           2
        .value_kind:     hidden_group_size_x
      - .offset:         38
        .size:           2
        .value_kind:     hidden_group_size_y
      - .offset:         40
        .size:           2
        .value_kind:     hidden_group_size_z
      - .offset:         42
        .size:           2
        .value_kind:     hidden_remainder_x
      - .offset:         44
        .size:           2
        .value_kind:     hidden_remainder_y
      - .offset:         46
        .size:           2
        .value_kind:     hidden_remainder_z
      - .offset:         64
        .size:           8
        .value_kind:     hidden_global_offset_x
      - .offset:         72
        .size:           8
        .value_kind:     hidden_global_offset_y
      - .offset:         80
        .size:           8
        .value_kind:     hidden_global_offset_z
      - .offset:         88
        .size:           2
        .value_kind:     hidden_grid_dims
    .group_segment_fixed_size: 0
    .kernarg_segment_align: 8
    .kernarg_segment_size: 280
    .language:       OpenCL C
    .language_version:
      - 2
      - 0
    .max_flat_workgroup_size: 1024
    .name:           _ZN9rocsolver6v33100L10reset_infoIiiiEEvPT_T0_T1_S4_
    .private_segment_fixed_size: 0
    .sgpr_count:     18
    .sgpr_spill_count: 0
    .symbol:         _ZN9rocsolver6v33100L10reset_infoIiiiEEvPT_T0_T1_S4_.kd
    .uniform_work_group_size: 1
    .uses_dynamic_stack: false
    .vgpr_count:     6
    .vgpr_spill_count: 0
    .wavefront_size: 32
    .workgroup_processor_mode: 1
  - .args:
      - .address_space:  global
        .offset:         0
        .size:           8
        .value_kind:     global_buffer
      - .offset:         8
        .size:           8
        .value_kind:     by_value
      - .offset:         16
        .size:           4
        .value_kind:     by_value
      - .offset:         20
        .size:           4
        .value_kind:     by_value
      - .offset:         24
        .size:           4
        .value_kind:     hidden_block_count_x
      - .offset:         28
        .size:           4
        .value_kind:     hidden_block_count_y
      - .offset:         32
        .size:           4
        .value_kind:     hidden_block_count_z
      - .offset:         36
        .size:           2
        .value_kind:     hidden_group_size_x
      - .offset:         38
        .size:           2
        .value_kind:     hidden_group_size_y
      - .offset:         40
        .size:           2
        .value_kind:     hidden_group_size_z
      - .offset:         42
        .size:           2
        .value_kind:     hidden_remainder_x
      - .offset:         44
        .size:           2
        .value_kind:     hidden_remainder_y
      - .offset:         46
        .size:           2
        .value_kind:     hidden_remainder_z
      - .offset:         64
        .size:           8
        .value_kind:     hidden_global_offset_x
      - .offset:         72
        .size:           8
        .value_kind:     hidden_global_offset_y
      - .offset:         80
        .size:           8
        .value_kind:     hidden_global_offset_z
      - .offset:         88
        .size:           2
        .value_kind:     hidden_grid_dims
    .group_segment_fixed_size: 0
    .kernarg_segment_align: 8
    .kernarg_segment_size: 280
    .language:       OpenCL C
    .language_version:
      - 2
      - 0
    .max_flat_workgroup_size: 1024
    .name:           _ZN9rocsolver6v33100L16reset_batch_infoIfiiPfEEvT2_lT0_T1_
    .private_segment_fixed_size: 0
    .sgpr_count:     18
    .sgpr_spill_count: 0
    .symbol:         _ZN9rocsolver6v33100L16reset_batch_infoIfiiPfEEvT2_lT0_T1_.kd
    .uniform_work_group_size: 1
    .uses_dynamic_stack: false
    .vgpr_count:     3
    .vgpr_spill_count: 0
    .wavefront_size: 32
    .workgroup_processor_mode: 1
  - .args:
      - .offset:         0
        .size:           4
        .value_kind:     by_value
      - .offset:         4
        .size:           4
        .value_kind:     by_value
      - .address_space:  global
        .offset:         8
        .size:           8
        .value_kind:     global_buffer
      - .offset:         16
        .size:           4
        .value_kind:     by_value
      - .offset:         20
        .size:           4
        .value_kind:     by_value
      - .offset:         24
        .size:           8
        .value_kind:     by_value
      - .offset:         32
        .size:           4
        .value_kind:     hidden_block_count_x
      - .offset:         36
        .size:           4
        .value_kind:     hidden_block_count_y
      - .offset:         40
        .size:           4
        .value_kind:     hidden_block_count_z
      - .offset:         44
        .size:           2
        .value_kind:     hidden_group_size_x
      - .offset:         46
        .size:           2
        .value_kind:     hidden_group_size_y
      - .offset:         48
        .size:           2
        .value_kind:     hidden_group_size_z
      - .offset:         50
        .size:           2
        .value_kind:     hidden_remainder_x
      - .offset:         52
        .size:           2
        .value_kind:     hidden_remainder_y
      - .offset:         54
        .size:           2
        .value_kind:     hidden_remainder_z
      - .offset:         72
        .size:           8
        .value_kind:     hidden_global_offset_x
      - .offset:         80
        .size:           8
        .value_kind:     hidden_global_offset_y
      - .offset:         88
        .size:           8
        .value_kind:     hidden_global_offset_z
      - .offset:         96
        .size:           2
        .value_kind:     hidden_grid_dims
    .group_segment_fixed_size: 0
    .kernarg_segment_align: 8
    .kernarg_segment_size: 288
    .language:       OpenCL C
    .language_version:
      - 2
      - 0
    .max_flat_workgroup_size: 1024
    .name:           _ZN9rocsolver6v33100L10init_identIfPfEEviiT0_iil
    .private_segment_fixed_size: 0
    .sgpr_count:     18
    .sgpr_spill_count: 0
    .symbol:         _ZN9rocsolver6v33100L10init_identIfPfEEviiT0_iil.kd
    .uniform_work_group_size: 1
    .uses_dynamic_stack: false
    .vgpr_count:     5
    .vgpr_spill_count: 0
    .wavefront_size: 32
    .workgroup_processor_mode: 1
  - .args:
      - .offset:         0
        .size:           4
        .value_kind:     by_value
      - .address_space:  global
        .offset:         8
        .size:           8
        .value_kind:     global_buffer
      - .offset:         16
        .size:           8
        .value_kind:     by_value
      - .address_space:  global
        .offset:         24
        .size:           8
        .value_kind:     global_buffer
      - .offset:         32
        .size:           8
        .value_kind:     by_value
      - .address_space:  global
        .offset:         40
        .size:           8
        .value_kind:     global_buffer
      - .address_space:  global
        .offset:         48
        .size:           8
        .value_kind:     global_buffer
      - .offset:         56
        .size:           4
        .value_kind:     by_value
      - .offset:         60
        .size:           4
        .value_kind:     by_value
      - .offset:         64
        .size:           4
        .value_kind:     by_value
      - .offset:         68
        .size:           4
        .value_kind:     by_value
    .group_segment_fixed_size: 0
    .kernarg_segment_align: 8
    .kernarg_segment_size: 72
    .language:       OpenCL C
    .language_version:
      - 2
      - 0
    .max_flat_workgroup_size: 1024
    .name:           _ZN9rocsolver6v33100L12sterf_kernelIfEEviPT_lS3_lPiS4_iS2_S2_S2_
    .private_segment_fixed_size: 0
    .sgpr_count:     70
    .sgpr_spill_count: 0
    .symbol:         _ZN9rocsolver6v33100L12sterf_kernelIfEEviPT_lS3_lPiS4_iS2_S2_S2_.kd
    .uniform_work_group_size: 1
    .uses_dynamic_stack: false
    .vgpr_count:     31
    .vgpr_spill_count: 0
    .wavefront_size: 32
    .workgroup_processor_mode: 1
  - .args:
      - .offset:         0
        .size:           4
        .value_kind:     by_value
      - .offset:         4
        .size:           4
        .value_kind:     by_value
      - .offset:         8
        .size:           4
        .value_kind:     by_value
      - .offset:         12
        .size:           4
        .value_kind:     by_value
      - .offset:         16
        .size:           4
        .value_kind:     by_value
      - .address_space:  global
        .offset:         24
        .size:           8
        .value_kind:     global_buffer
      - .offset:         32
        .size:           8
        .value_kind:     by_value
      - .address_space:  global
        .offset:         40
        .size:           8
        .value_kind:     global_buffer
      - .offset:         48
        .size:           8
        .value_kind:     by_value
      - .address_space:  global
        .offset:         56
        .size:           8
        .value_kind:     global_buffer
      - .offset:         64
        .size:           8
        .value_kind:     by_value
      - .offset:         72
        .size:           4
        .value_kind:     by_value
      - .offset:         80
        .size:           8
        .value_kind:     by_value
      - .offset:         88
        .size:           4
        .value_kind:     by_value
      - .offset:         96
        .size:           4
        .value_kind:     hidden_block_count_x
      - .offset:         100
        .size:           4
        .value_kind:     hidden_block_count_y
      - .offset:         104
        .size:           4
        .value_kind:     hidden_block_count_z
      - .offset:         108
        .size:           2
        .value_kind:     hidden_group_size_x
      - .offset:         110
        .size:           2
        .value_kind:     hidden_group_size_y
      - .offset:         112
        .size:           2
        .value_kind:     hidden_group_size_z
      - .offset:         114
        .size:           2
        .value_kind:     hidden_remainder_x
      - .offset:         116
        .size:           2
        .value_kind:     hidden_remainder_y
      - .offset:         118
        .size:           2
        .value_kind:     hidden_remainder_z
      - .offset:         136
        .size:           8
        .value_kind:     hidden_global_offset_x
      - .offset:         144
        .size:           8
        .value_kind:     hidden_global_offset_y
      - .offset:         152
        .size:           8
        .value_kind:     hidden_global_offset_z
      - .offset:         160
        .size:           2
        .value_kind:     hidden_grid_dims
    .group_segment_fixed_size: 0
    .kernarg_segment_align: 8
    .kernarg_segment_size: 352
    .language:       OpenCL C
    .language_version:
      - 2
      - 0
    .max_flat_workgroup_size: 64
    .name:           _ZN9rocsolver6v33100L11lasr_kernelIffPfiEEv13rocblas_side_14rocblas_pivot_15rocblas_direct_T2_S6_PT0_lS8_lT1_lS6_lS6_
    .private_segment_fixed_size: 0
    .sgpr_count:     89
    .sgpr_spill_count: 0
    .symbol:         _ZN9rocsolver6v33100L11lasr_kernelIffPfiEEv13rocblas_side_14rocblas_pivot_15rocblas_direct_T2_S6_PT0_lS8_lT1_lS6_lS6_.kd
    .uniform_work_group_size: 1
    .uses_dynamic_stack: false
    .vgpr_count:     41
    .vgpr_spill_count: 0
    .wavefront_size: 32
    .workgroup_processor_mode: 1
  - .args:
      - .offset:         0
        .size:           4
        .value_kind:     by_value
      - .address_space:  global
        .offset:         8
        .size:           8
        .value_kind:     global_buffer
      - .offset:         16
        .size:           4
        .value_kind:     by_value
      - .address_space:  global
        .offset:         24
        .size:           8
        .value_kind:     global_buffer
      - .offset:         32
        .size:           4
        .value_kind:     by_value
      - .offset:         40
        .size:           4
        .value_kind:     hidden_block_count_x
      - .offset:         44
        .size:           4
        .value_kind:     hidden_block_count_y
      - .offset:         48
        .size:           4
        .value_kind:     hidden_block_count_z
      - .offset:         52
        .size:           2
        .value_kind:     hidden_group_size_x
      - .offset:         54
        .size:           2
        .value_kind:     hidden_group_size_y
      - .offset:         56
        .size:           2
        .value_kind:     hidden_group_size_z
      - .offset:         58
        .size:           2
        .value_kind:     hidden_remainder_x
      - .offset:         60
        .size:           2
        .value_kind:     hidden_remainder_y
      - .offset:         62
        .size:           2
        .value_kind:     hidden_remainder_z
      - .offset:         80
        .size:           8
        .value_kind:     hidden_global_offset_x
      - .offset:         88
        .size:           8
        .value_kind:     hidden_global_offset_y
      - .offset:         96
        .size:           8
        .value_kind:     hidden_global_offset_z
      - .offset:         104
        .size:           2
        .value_kind:     hidden_grid_dims
    .group_segment_fixed_size: 0
    .kernarg_segment_align: 8
    .kernarg_segment_size: 296
    .language:       OpenCL C
    .language_version:
      - 2
      - 0
    .max_flat_workgroup_size: 1024
    .name:           _ZN9rocsolver6v33100L11swap_kernelIfiEEvT0_PT_S2_S4_S2_
    .private_segment_fixed_size: 0
    .sgpr_count:     18
    .sgpr_spill_count: 0
    .symbol:         _ZN9rocsolver6v33100L11swap_kernelIfiEEvT0_PT_S2_S4_S2_.kd
    .uniform_work_group_size: 1
    .uses_dynamic_stack: false
    .vgpr_count:     9
    .vgpr_spill_count: 0
    .wavefront_size: 32
    .workgroup_processor_mode: 1
  - .args:
      - .offset:         0
        .size:           4
        .value_kind:     by_value
      - .address_space:  global
        .offset:         8
        .size:           8
        .value_kind:     global_buffer
      - .offset:         16
        .size:           8
        .value_kind:     by_value
      - .address_space:  global
        .offset:         24
        .size:           8
        .value_kind:     global_buffer
      - .offset:         32
        .size:           8
        .value_kind:     by_value
      - .address_space:  global
        .offset:         40
        .size:           8
        .value_kind:     global_buffer
      - .offset:         48
        .size:           4
        .value_kind:     by_value
      - .offset:         52
        .size:           4
        .value_kind:     by_value
      - .offset:         56
        .size:           8
        .value_kind:     by_value
      - .address_space:  global
        .offset:         64
        .size:           8
        .value_kind:     global_buffer
      - .address_space:  global
        .offset:         72
        .size:           8
        .value_kind:     global_buffer
      - .offset:         80
        .size:           4
        .value_kind:     by_value
      - .offset:         84
        .size:           4
        .value_kind:     by_value
      - .offset:         88
        .size:           4
        .value_kind:     by_value
      - .offset:         92
        .size:           4
        .value_kind:     by_value
      - .offset:         96
        .size:           4
        .value_kind:     hidden_block_count_x
      - .offset:         100
        .size:           4
        .value_kind:     hidden_block_count_y
      - .offset:         104
        .size:           4
        .value_kind:     hidden_block_count_z
      - .offset:         108
        .size:           2
        .value_kind:     hidden_group_size_x
      - .offset:         110
        .size:           2
        .value_kind:     hidden_group_size_y
      - .offset:         112
        .size:           2
        .value_kind:     hidden_group_size_z
      - .offset:         114
        .size:           2
        .value_kind:     hidden_remainder_x
      - .offset:         116
        .size:           2
        .value_kind:     hidden_remainder_y
      - .offset:         118
        .size:           2
        .value_kind:     hidden_remainder_z
      - .offset:         136
        .size:           8
        .value_kind:     hidden_global_offset_x
      - .offset:         144
        .size:           8
        .value_kind:     hidden_global_offset_y
      - .offset:         152
        .size:           8
        .value_kind:     hidden_global_offset_z
      - .offset:         160
        .size:           2
        .value_kind:     hidden_grid_dims
    .group_segment_fixed_size: 36
    .kernarg_segment_align: 8
    .kernarg_segment_size: 352
    .language:       OpenCL C
    .language_version:
      - 2
      - 0
    .max_flat_workgroup_size: 1024
    .name:           _ZN9rocsolver6v33100L12steqr_kernelIffPfEEviPT0_lS4_lT1_iilPiS4_iS3_S3_S3_
    .private_segment_fixed_size: 0
    .sgpr_count:     86
    .sgpr_spill_count: 0
    .symbol:         _ZN9rocsolver6v33100L12steqr_kernelIffPfEEviPT0_lS4_lT1_iilPiS4_iS3_S3_S3_.kd
    .uniform_work_group_size: 1
    .uses_dynamic_stack: false
    .vgpr_count:     64
    .vgpr_spill_count: 0
    .wavefront_size: 32
    .workgroup_processor_mode: 1
  - .args:
      - .address_space:  global
        .offset:         0
        .size:           8
        .value_kind:     global_buffer
      - .offset:         8
        .size:           8
        .value_kind:     by_value
      - .offset:         16
        .size:           4
        .value_kind:     by_value
      - .offset:         20
        .size:           4
        .value_kind:     by_value
      - .offset:         24
        .size:           4
        .value_kind:     hidden_block_count_x
      - .offset:         28
        .size:           4
        .value_kind:     hidden_block_count_y
      - .offset:         32
        .size:           4
        .value_kind:     hidden_block_count_z
      - .offset:         36
        .size:           2
        .value_kind:     hidden_group_size_x
      - .offset:         38
        .size:           2
        .value_kind:     hidden_group_size_y
      - .offset:         40
        .size:           2
        .value_kind:     hidden_group_size_z
      - .offset:         42
        .size:           2
        .value_kind:     hidden_remainder_x
      - .offset:         44
        .size:           2
        .value_kind:     hidden_remainder_y
      - .offset:         46
        .size:           2
        .value_kind:     hidden_remainder_z
      - .offset:         64
        .size:           8
        .value_kind:     hidden_global_offset_x
      - .offset:         72
        .size:           8
        .value_kind:     hidden_global_offset_y
      - .offset:         80
        .size:           8
        .value_kind:     hidden_global_offset_z
      - .offset:         88
        .size:           2
        .value_kind:     hidden_grid_dims
    .group_segment_fixed_size: 0
    .kernarg_segment_align: 8
    .kernarg_segment_size: 280
    .language:       OpenCL C
    .language_version:
      - 2
      - 0
    .max_flat_workgroup_size: 1024
    .name:           _ZN9rocsolver6v33100L16reset_batch_infoIdiiPdEEvT2_lT0_T1_
    .private_segment_fixed_size: 0
    .sgpr_count:     18
    .sgpr_spill_count: 0
    .symbol:         _ZN9rocsolver6v33100L16reset_batch_infoIdiiPdEEvT2_lT0_T1_.kd
    .uniform_work_group_size: 1
    .uses_dynamic_stack: false
    .vgpr_count:     5
    .vgpr_spill_count: 0
    .wavefront_size: 32
    .workgroup_processor_mode: 1
  - .args:
      - .offset:         0
        .size:           4
        .value_kind:     by_value
      - .offset:         4
        .size:           4
        .value_kind:     by_value
      - .address_space:  global
        .offset:         8
        .size:           8
        .value_kind:     global_buffer
      - .offset:         16
        .size:           4
        .value_kind:     by_value
      - .offset:         20
        .size:           4
        .value_kind:     by_value
      - .offset:         24
        .size:           8
        .value_kind:     by_value
      - .offset:         32
        .size:           4
        .value_kind:     hidden_block_count_x
      - .offset:         36
        .size:           4
        .value_kind:     hidden_block_count_y
      - .offset:         40
        .size:           4
        .value_kind:     hidden_block_count_z
      - .offset:         44
        .size:           2
        .value_kind:     hidden_group_size_x
      - .offset:         46
        .size:           2
        .value_kind:     hidden_group_size_y
      - .offset:         48
        .size:           2
        .value_kind:     hidden_group_size_z
      - .offset:         50
        .size:           2
        .value_kind:     hidden_remainder_x
      - .offset:         52
        .size:           2
        .value_kind:     hidden_remainder_y
      - .offset:         54
        .size:           2
        .value_kind:     hidden_remainder_z
      - .offset:         72
        .size:           8
        .value_kind:     hidden_global_offset_x
      - .offset:         80
        .size:           8
        .value_kind:     hidden_global_offset_y
      - .offset:         88
        .size:           8
        .value_kind:     hidden_global_offset_z
      - .offset:         96
        .size:           2
        .value_kind:     hidden_grid_dims
    .group_segment_fixed_size: 0
    .kernarg_segment_align: 8
    .kernarg_segment_size: 288
    .language:       OpenCL C
    .language_version:
      - 2
      - 0
    .max_flat_workgroup_size: 1024
    .name:           _ZN9rocsolver6v33100L10init_identIdPdEEviiT0_iil
    .private_segment_fixed_size: 0
    .sgpr_count:     18
    .sgpr_spill_count: 0
    .symbol:         _ZN9rocsolver6v33100L10init_identIdPdEEviiT0_iil.kd
    .uniform_work_group_size: 1
    .uses_dynamic_stack: false
    .vgpr_count:     6
    .vgpr_spill_count: 0
    .wavefront_size: 32
    .workgroup_processor_mode: 1
  - .args:
      - .offset:         0
        .size:           4
        .value_kind:     by_value
      - .address_space:  global
        .offset:         8
        .size:           8
        .value_kind:     global_buffer
      - .offset:         16
        .size:           8
        .value_kind:     by_value
      - .address_space:  global
        .offset:         24
        .size:           8
        .value_kind:     global_buffer
      - .offset:         32
        .size:           8
        .value_kind:     by_value
      - .address_space:  global
        .offset:         40
        .size:           8
        .value_kind:     global_buffer
      - .address_space:  global
        .offset:         48
        .size:           8
        .value_kind:     global_buffer
      - .offset:         56
        .size:           4
        .value_kind:     by_value
      - .offset:         64
        .size:           8
        .value_kind:     by_value
      - .offset:         72
        .size:           8
        .value_kind:     by_value
      - .offset:         80
        .size:           8
        .value_kind:     by_value
    .group_segment_fixed_size: 0
    .kernarg_segment_align: 8
    .kernarg_segment_size: 88
    .language:       OpenCL C
    .language_version:
      - 2
      - 0
    .max_flat_workgroup_size: 1024
    .name:           _ZN9rocsolver6v33100L12sterf_kernelIdEEviPT_lS3_lPiS4_iS2_S2_S2_
    .private_segment_fixed_size: 0
    .sgpr_count:     73
    .sgpr_spill_count: 0
    .symbol:         _ZN9rocsolver6v33100L12sterf_kernelIdEEviPT_lS3_lPiS4_iS2_S2_S2_.kd
    .uniform_work_group_size: 1
    .uses_dynamic_stack: false
    .vgpr_count:     38
    .vgpr_spill_count: 0
    .wavefront_size: 32
    .workgroup_processor_mode: 1
  - .args:
      - .offset:         0
        .size:           4
        .value_kind:     by_value
      - .offset:         4
        .size:           4
        .value_kind:     by_value
      - .offset:         8
        .size:           4
        .value_kind:     by_value
      - .offset:         12
        .size:           4
        .value_kind:     by_value
      - .offset:         16
        .size:           4
        .value_kind:     by_value
      - .address_space:  global
        .offset:         24
        .size:           8
        .value_kind:     global_buffer
      - .offset:         32
        .size:           8
        .value_kind:     by_value
      - .address_space:  global
        .offset:         40
        .size:           8
        .value_kind:     global_buffer
      - .offset:         48
        .size:           8
        .value_kind:     by_value
      - .address_space:  global
        .offset:         56
        .size:           8
        .value_kind:     global_buffer
      - .offset:         64
        .size:           8
        .value_kind:     by_value
      - .offset:         72
        .size:           4
        .value_kind:     by_value
      - .offset:         80
        .size:           8
        .value_kind:     by_value
      - .offset:         88
        .size:           4
        .value_kind:     by_value
      - .offset:         96
        .size:           4
        .value_kind:     hidden_block_count_x
      - .offset:         100
        .size:           4
        .value_kind:     hidden_block_count_y
      - .offset:         104
        .size:           4
        .value_kind:     hidden_block_count_z
      - .offset:         108
        .size:           2
        .value_kind:     hidden_group_size_x
      - .offset:         110
        .size:           2
        .value_kind:     hidden_group_size_y
      - .offset:         112
        .size:           2
        .value_kind:     hidden_group_size_z
      - .offset:         114
        .size:           2
        .value_kind:     hidden_remainder_x
      - .offset:         116
        .size:           2
        .value_kind:     hidden_remainder_y
      - .offset:         118
        .size:           2
        .value_kind:     hidden_remainder_z
      - .offset:         136
        .size:           8
        .value_kind:     hidden_global_offset_x
      - .offset:         144
        .size:           8
        .value_kind:     hidden_global_offset_y
      - .offset:         152
        .size:           8
        .value_kind:     hidden_global_offset_z
      - .offset:         160
        .size:           2
        .value_kind:     hidden_grid_dims
    .group_segment_fixed_size: 0
    .kernarg_segment_align: 8
    .kernarg_segment_size: 352
    .language:       OpenCL C
    .language_version:
      - 2
      - 0
    .max_flat_workgroup_size: 64
    .name:           _ZN9rocsolver6v33100L11lasr_kernelIddPdiEEv13rocblas_side_14rocblas_pivot_15rocblas_direct_T2_S6_PT0_lS8_lT1_lS6_lS6_
    .private_segment_fixed_size: 0
    .sgpr_count:     89
    .sgpr_spill_count: 0
    .symbol:         _ZN9rocsolver6v33100L11lasr_kernelIddPdiEEv13rocblas_side_14rocblas_pivot_15rocblas_direct_T2_S6_PT0_lS8_lT1_lS6_lS6_.kd
    .uniform_work_group_size: 1
    .uses_dynamic_stack: false
    .vgpr_count:     43
    .vgpr_spill_count: 0
    .wavefront_size: 32
    .workgroup_processor_mode: 1
  - .args:
      - .offset:         0
        .size:           4
        .value_kind:     by_value
      - .address_space:  global
        .offset:         8
        .size:           8
        .value_kind:     global_buffer
      - .offset:         16
        .size:           4
        .value_kind:     by_value
      - .address_space:  global
        .offset:         24
        .size:           8
        .value_kind:     global_buffer
      - .offset:         32
        .size:           4
        .value_kind:     by_value
      - .offset:         40
        .size:           4
        .value_kind:     hidden_block_count_x
      - .offset:         44
        .size:           4
        .value_kind:     hidden_block_count_y
      - .offset:         48
        .size:           4
        .value_kind:     hidden_block_count_z
      - .offset:         52
        .size:           2
        .value_kind:     hidden_group_size_x
      - .offset:         54
        .size:           2
        .value_kind:     hidden_group_size_y
      - .offset:         56
        .size:           2
        .value_kind:     hidden_group_size_z
      - .offset:         58
        .size:           2
        .value_kind:     hidden_remainder_x
      - .offset:         60
        .size:           2
        .value_kind:     hidden_remainder_y
      - .offset:         62
        .size:           2
        .value_kind:     hidden_remainder_z
      - .offset:         80
        .size:           8
        .value_kind:     hidden_global_offset_x
      - .offset:         88
        .size:           8
        .value_kind:     hidden_global_offset_y
      - .offset:         96
        .size:           8
        .value_kind:     hidden_global_offset_z
      - .offset:         104
        .size:           2
        .value_kind:     hidden_grid_dims
    .group_segment_fixed_size: 0
    .kernarg_segment_align: 8
    .kernarg_segment_size: 296
    .language:       OpenCL C
    .language_version:
      - 2
      - 0
    .max_flat_workgroup_size: 1024
    .name:           _ZN9rocsolver6v33100L11swap_kernelIdiEEvT0_PT_S2_S4_S2_
    .private_segment_fixed_size: 0
    .sgpr_count:     18
    .sgpr_spill_count: 0
    .symbol:         _ZN9rocsolver6v33100L11swap_kernelIdiEEvT0_PT_S2_S4_S2_.kd
    .uniform_work_group_size: 1
    .uses_dynamic_stack: false
    .vgpr_count:     12
    .vgpr_spill_count: 0
    .wavefront_size: 32
    .workgroup_processor_mode: 1
  - .args:
      - .offset:         0
        .size:           4
        .value_kind:     by_value
      - .address_space:  global
        .offset:         8
        .size:           8
        .value_kind:     global_buffer
      - .offset:         16
        .size:           8
        .value_kind:     by_value
      - .address_space:  global
        .offset:         24
        .size:           8
        .value_kind:     global_buffer
      - .offset:         32
        .size:           8
        .value_kind:     by_value
      - .address_space:  global
        .offset:         40
        .size:           8
        .value_kind:     global_buffer
      - .offset:         48
        .size:           4
        .value_kind:     by_value
      - .offset:         52
        .size:           4
        .value_kind:     by_value
      - .offset:         56
        .size:           8
        .value_kind:     by_value
      - .address_space:  global
        .offset:         64
        .size:           8
        .value_kind:     global_buffer
      - .address_space:  global
        .offset:         72
        .size:           8
        .value_kind:     global_buffer
      - .offset:         80
        .size:           4
        .value_kind:     by_value
      - .offset:         88
        .size:           8
        .value_kind:     by_value
      - .offset:         96
        .size:           8
        .value_kind:     by_value
      - .offset:         104
        .size:           8
        .value_kind:     by_value
      - .offset:         112
        .size:           4
        .value_kind:     hidden_block_count_x
      - .offset:         116
        .size:           4
        .value_kind:     hidden_block_count_y
      - .offset:         120
        .size:           4
        .value_kind:     hidden_block_count_z
      - .offset:         124
        .size:           2
        .value_kind:     hidden_group_size_x
      - .offset:         126
        .size:           2
        .value_kind:     hidden_group_size_y
      - .offset:         128
        .size:           2
        .value_kind:     hidden_group_size_z
      - .offset:         130
        .size:           2
        .value_kind:     hidden_remainder_x
      - .offset:         132
        .size:           2
        .value_kind:     hidden_remainder_y
      - .offset:         134
        .size:           2
        .value_kind:     hidden_remainder_z
      - .offset:         152
        .size:           8
        .value_kind:     hidden_global_offset_x
      - .offset:         160
        .size:           8
        .value_kind:     hidden_global_offset_y
      - .offset:         168
        .size:           8
        .value_kind:     hidden_global_offset_z
      - .offset:         176
        .size:           2
        .value_kind:     hidden_grid_dims
    .group_segment_fixed_size: 48
    .kernarg_segment_align: 8
    .kernarg_segment_size: 368
    .language:       OpenCL C
    .language_version:
      - 2
      - 0
    .max_flat_workgroup_size: 1024
    .name:           _ZN9rocsolver6v33100L12steqr_kernelIddPdEEviPT0_lS4_lT1_iilPiS4_iS3_S3_S3_
    .private_segment_fixed_size: 0
    .sgpr_count:     89
    .sgpr_spill_count: 0
    .symbol:         _ZN9rocsolver6v33100L12steqr_kernelIddPdEEviPT0_lS4_lT1_iilPiS4_iS3_S3_S3_.kd
    .uniform_work_group_size: 1
    .uses_dynamic_stack: false
    .vgpr_count:     68
    .vgpr_spill_count: 0
    .wavefront_size: 32
    .workgroup_processor_mode: 1
  - .args:
      - .address_space:  global
        .offset:         0
        .size:           8
        .value_kind:     global_buffer
      - .offset:         8
        .size:           8
        .value_kind:     by_value
      - .offset:         16
        .size:           4
        .value_kind:     by_value
      - .offset:         20
        .size:           4
        .value_kind:     by_value
      - .offset:         24
        .size:           4
        .value_kind:     hidden_block_count_x
      - .offset:         28
        .size:           4
        .value_kind:     hidden_block_count_y
      - .offset:         32
        .size:           4
        .value_kind:     hidden_block_count_z
      - .offset:         36
        .size:           2
        .value_kind:     hidden_group_size_x
      - .offset:         38
        .size:           2
        .value_kind:     hidden_group_size_y
      - .offset:         40
        .size:           2
        .value_kind:     hidden_group_size_z
      - .offset:         42
        .size:           2
        .value_kind:     hidden_remainder_x
      - .offset:         44
        .size:           2
        .value_kind:     hidden_remainder_y
      - .offset:         46
        .size:           2
        .value_kind:     hidden_remainder_z
      - .offset:         64
        .size:           8
        .value_kind:     hidden_global_offset_x
      - .offset:         72
        .size:           8
        .value_kind:     hidden_global_offset_y
      - .offset:         80
        .size:           8
        .value_kind:     hidden_global_offset_z
      - .offset:         88
        .size:           2
        .value_kind:     hidden_grid_dims
    .group_segment_fixed_size: 0
    .kernarg_segment_align: 8
    .kernarg_segment_size: 280
    .language:       OpenCL C
    .language_version:
      - 2
      - 0
    .max_flat_workgroup_size: 1024
    .name:           _ZN9rocsolver6v33100L16reset_batch_infoI19rocblas_complex_numIfEiiPS3_EEvT2_lT0_T1_
    .private_segment_fixed_size: 0
    .sgpr_count:     18
    .sgpr_spill_count: 0
    .symbol:         _ZN9rocsolver6v33100L16reset_batch_infoI19rocblas_complex_numIfEiiPS3_EEvT2_lT0_T1_.kd
    .uniform_work_group_size: 1
    .uses_dynamic_stack: false
    .vgpr_count:     4
    .vgpr_spill_count: 0
    .wavefront_size: 32
    .workgroup_processor_mode: 1
  - .args:
      - .offset:         0
        .size:           4
        .value_kind:     by_value
      - .offset:         4
        .size:           4
        .value_kind:     by_value
      - .address_space:  global
        .offset:         8
        .size:           8
        .value_kind:     global_buffer
      - .offset:         16
        .size:           4
        .value_kind:     by_value
      - .offset:         20
        .size:           4
        .value_kind:     by_value
      - .offset:         24
        .size:           8
        .value_kind:     by_value
      - .offset:         32
        .size:           4
        .value_kind:     hidden_block_count_x
      - .offset:         36
        .size:           4
        .value_kind:     hidden_block_count_y
      - .offset:         40
        .size:           4
        .value_kind:     hidden_block_count_z
      - .offset:         44
        .size:           2
        .value_kind:     hidden_group_size_x
      - .offset:         46
        .size:           2
        .value_kind:     hidden_group_size_y
      - .offset:         48
        .size:           2
        .value_kind:     hidden_group_size_z
      - .offset:         50
        .size:           2
        .value_kind:     hidden_remainder_x
      - .offset:         52
        .size:           2
        .value_kind:     hidden_remainder_y
      - .offset:         54
        .size:           2
        .value_kind:     hidden_remainder_z
      - .offset:         72
        .size:           8
        .value_kind:     hidden_global_offset_x
      - .offset:         80
        .size:           8
        .value_kind:     hidden_global_offset_y
      - .offset:         88
        .size:           8
        .value_kind:     hidden_global_offset_z
      - .offset:         96
        .size:           2
        .value_kind:     hidden_grid_dims
    .group_segment_fixed_size: 0
    .kernarg_segment_align: 8
    .kernarg_segment_size: 288
    .language:       OpenCL C
    .language_version:
      - 2
      - 0
    .max_flat_workgroup_size: 1024
    .name:           _ZN9rocsolver6v33100L10init_identI19rocblas_complex_numIfEPS3_EEviiT0_iil
    .private_segment_fixed_size: 0
    .sgpr_count:     18
    .sgpr_spill_count: 0
    .symbol:         _ZN9rocsolver6v33100L10init_identI19rocblas_complex_numIfEPS3_EEviiT0_iil.kd
    .uniform_work_group_size: 1
    .uses_dynamic_stack: false
    .vgpr_count:     7
    .vgpr_spill_count: 0
    .wavefront_size: 32
    .workgroup_processor_mode: 1
  - .args:
      - .offset:         0
        .size:           4
        .value_kind:     by_value
      - .offset:         4
        .size:           4
        .value_kind:     by_value
      - .offset:         8
        .size:           4
        .value_kind:     by_value
      - .offset:         12
        .size:           4
        .value_kind:     by_value
      - .offset:         16
        .size:           4
        .value_kind:     by_value
      - .address_space:  global
        .offset:         24
        .size:           8
        .value_kind:     global_buffer
      - .offset:         32
        .size:           8
        .value_kind:     by_value
      - .address_space:  global
        .offset:         40
        .size:           8
        .value_kind:     global_buffer
      - .offset:         48
        .size:           8
        .value_kind:     by_value
      - .address_space:  global
        .offset:         56
        .size:           8
        .value_kind:     global_buffer
      - .offset:         64
        .size:           8
        .value_kind:     by_value
      - .offset:         72
        .size:           4
        .value_kind:     by_value
      - .offset:         80
        .size:           8
        .value_kind:     by_value
      - .offset:         88
        .size:           4
        .value_kind:     by_value
      - .offset:         96
        .size:           4
        .value_kind:     hidden_block_count_x
      - .offset:         100
        .size:           4
        .value_kind:     hidden_block_count_y
      - .offset:         104
        .size:           4
        .value_kind:     hidden_block_count_z
      - .offset:         108
        .size:           2
        .value_kind:     hidden_group_size_x
      - .offset:         110
        .size:           2
        .value_kind:     hidden_group_size_y
      - .offset:         112
        .size:           2
        .value_kind:     hidden_group_size_z
      - .offset:         114
        .size:           2
        .value_kind:     hidden_remainder_x
      - .offset:         116
        .size:           2
        .value_kind:     hidden_remainder_y
      - .offset:         118
        .size:           2
        .value_kind:     hidden_remainder_z
      - .offset:         136
        .size:           8
        .value_kind:     hidden_global_offset_x
      - .offset:         144
        .size:           8
        .value_kind:     hidden_global_offset_y
      - .offset:         152
        .size:           8
        .value_kind:     hidden_global_offset_z
      - .offset:         160
        .size:           2
        .value_kind:     hidden_grid_dims
    .group_segment_fixed_size: 0
    .kernarg_segment_align: 8
    .kernarg_segment_size: 352
    .language:       OpenCL C
    .language_version:
      - 2
      - 0
    .max_flat_workgroup_size: 64
    .name:           _ZN9rocsolver6v33100L11lasr_kernelI19rocblas_complex_numIfEfPS3_iEEv13rocblas_side_14rocblas_pivot_15rocblas_direct_T2_S8_PT0_lSA_lT1_lS8_lS8_
    .private_segment_fixed_size: 0
    .sgpr_count:     89
    .sgpr_spill_count: 0
    .symbol:         _ZN9rocsolver6v33100L11lasr_kernelI19rocblas_complex_numIfEfPS3_iEEv13rocblas_side_14rocblas_pivot_15rocblas_direct_T2_S8_PT0_lSA_lT1_lS8_lS8_.kd
    .uniform_work_group_size: 1
    .uses_dynamic_stack: false
    .vgpr_count:     47
    .vgpr_spill_count: 0
    .wavefront_size: 32
    .workgroup_processor_mode: 1
  - .args:
      - .offset:         0
        .size:           4
        .value_kind:     by_value
      - .address_space:  global
        .offset:         8
        .size:           8
        .value_kind:     global_buffer
      - .offset:         16
        .size:           4
        .value_kind:     by_value
      - .address_space:  global
        .offset:         24
        .size:           8
        .value_kind:     global_buffer
      - .offset:         32
        .size:           4
        .value_kind:     by_value
      - .offset:         40
        .size:           4
        .value_kind:     hidden_block_count_x
      - .offset:         44
        .size:           4
        .value_kind:     hidden_block_count_y
      - .offset:         48
        .size:           4
        .value_kind:     hidden_block_count_z
      - .offset:         52
        .size:           2
        .value_kind:     hidden_group_size_x
      - .offset:         54
        .size:           2
        .value_kind:     hidden_group_size_y
      - .offset:         56
        .size:           2
        .value_kind:     hidden_group_size_z
      - .offset:         58
        .size:           2
        .value_kind:     hidden_remainder_x
      - .offset:         60
        .size:           2
        .value_kind:     hidden_remainder_y
      - .offset:         62
        .size:           2
        .value_kind:     hidden_remainder_z
      - .offset:         80
        .size:           8
        .value_kind:     hidden_global_offset_x
      - .offset:         88
        .size:           8
        .value_kind:     hidden_global_offset_y
      - .offset:         96
        .size:           8
        .value_kind:     hidden_global_offset_z
      - .offset:         104
        .size:           2
        .value_kind:     hidden_grid_dims
    .group_segment_fixed_size: 0
    .kernarg_segment_align: 8
    .kernarg_segment_size: 296
    .language:       OpenCL C
    .language_version:
      - 2
      - 0
    .max_flat_workgroup_size: 1024
    .name:           _ZN9rocsolver6v33100L11swap_kernelI19rocblas_complex_numIfEiEEvT0_PT_S4_S6_S4_
    .private_segment_fixed_size: 0
    .sgpr_count:     18
    .sgpr_spill_count: 0
    .symbol:         _ZN9rocsolver6v33100L11swap_kernelI19rocblas_complex_numIfEiEEvT0_PT_S4_S6_S4_.kd
    .uniform_work_group_size: 1
    .uses_dynamic_stack: false
    .vgpr_count:     12
    .vgpr_spill_count: 0
    .wavefront_size: 32
    .workgroup_processor_mode: 1
  - .args:
      - .offset:         0
        .size:           4
        .value_kind:     by_value
      - .address_space:  global
        .offset:         8
        .size:           8
        .value_kind:     global_buffer
      - .offset:         16
        .size:           8
        .value_kind:     by_value
      - .address_space:  global
        .offset:         24
        .size:           8
        .value_kind:     global_buffer
      - .offset:         32
        .size:           8
        .value_kind:     by_value
      - .address_space:  global
        .offset:         40
        .size:           8
        .value_kind:     global_buffer
      - .offset:         48
        .size:           4
        .value_kind:     by_value
      - .offset:         52
        .size:           4
        .value_kind:     by_value
      - .offset:         56
        .size:           8
        .value_kind:     by_value
      - .address_space:  global
        .offset:         64
        .size:           8
        .value_kind:     global_buffer
      - .address_space:  global
        .offset:         72
        .size:           8
        .value_kind:     global_buffer
      - .offset:         80
        .size:           4
        .value_kind:     by_value
      - .offset:         84
        .size:           4
        .value_kind:     by_value
      - .offset:         88
        .size:           4
        .value_kind:     by_value
      - .offset:         92
        .size:           4
        .value_kind:     by_value
      - .offset:         96
        .size:           4
        .value_kind:     hidden_block_count_x
      - .offset:         100
        .size:           4
        .value_kind:     hidden_block_count_y
      - .offset:         104
        .size:           4
        .value_kind:     hidden_block_count_z
      - .offset:         108
        .size:           2
        .value_kind:     hidden_group_size_x
      - .offset:         110
        .size:           2
        .value_kind:     hidden_group_size_y
      - .offset:         112
        .size:           2
        .value_kind:     hidden_group_size_z
      - .offset:         114
        .size:           2
        .value_kind:     hidden_remainder_x
      - .offset:         116
        .size:           2
        .value_kind:     hidden_remainder_y
      - .offset:         118
        .size:           2
        .value_kind:     hidden_remainder_z
      - .offset:         136
        .size:           8
        .value_kind:     hidden_global_offset_x
      - .offset:         144
        .size:           8
        .value_kind:     hidden_global_offset_y
      - .offset:         152
        .size:           8
        .value_kind:     hidden_global_offset_z
      - .offset:         160
        .size:           2
        .value_kind:     hidden_grid_dims
    .group_segment_fixed_size: 36
    .kernarg_segment_align: 8
    .kernarg_segment_size: 352
    .language:       OpenCL C
    .language_version:
      - 2
      - 0
    .max_flat_workgroup_size: 1024
    .name:           _ZN9rocsolver6v33100L12steqr_kernelI19rocblas_complex_numIfEfPS3_EEviPT0_lS6_lT1_iilPiS6_iS5_S5_S5_
    .private_segment_fixed_size: 0
    .sgpr_count:     88
    .sgpr_spill_count: 0
    .symbol:         _ZN9rocsolver6v33100L12steqr_kernelI19rocblas_complex_numIfEfPS3_EEviPT0_lS6_lT1_iilPiS6_iS5_S5_S5_.kd
    .uniform_work_group_size: 1
    .uses_dynamic_stack: false
    .vgpr_count:     66
    .vgpr_spill_count: 0
    .wavefront_size: 32
    .workgroup_processor_mode: 1
  - .args:
      - .address_space:  global
        .offset:         0
        .size:           8
        .value_kind:     global_buffer
      - .offset:         8
        .size:           8
        .value_kind:     by_value
      - .offset:         16
        .size:           4
        .value_kind:     by_value
      - .offset:         20
        .size:           4
        .value_kind:     by_value
      - .offset:         24
        .size:           4
        .value_kind:     hidden_block_count_x
      - .offset:         28
        .size:           4
        .value_kind:     hidden_block_count_y
      - .offset:         32
        .size:           4
        .value_kind:     hidden_block_count_z
      - .offset:         36
        .size:           2
        .value_kind:     hidden_group_size_x
      - .offset:         38
        .size:           2
        .value_kind:     hidden_group_size_y
      - .offset:         40
        .size:           2
        .value_kind:     hidden_group_size_z
      - .offset:         42
        .size:           2
        .value_kind:     hidden_remainder_x
      - .offset:         44
        .size:           2
        .value_kind:     hidden_remainder_y
      - .offset:         46
        .size:           2
        .value_kind:     hidden_remainder_z
      - .offset:         64
        .size:           8
        .value_kind:     hidden_global_offset_x
      - .offset:         72
        .size:           8
        .value_kind:     hidden_global_offset_y
      - .offset:         80
        .size:           8
        .value_kind:     hidden_global_offset_z
      - .offset:         88
        .size:           2
        .value_kind:     hidden_grid_dims
    .group_segment_fixed_size: 0
    .kernarg_segment_align: 8
    .kernarg_segment_size: 280
    .language:       OpenCL C
    .language_version:
      - 2
      - 0
    .max_flat_workgroup_size: 1024
    .name:           _ZN9rocsolver6v33100L16reset_batch_infoI19rocblas_complex_numIdEiiPS3_EEvT2_lT0_T1_
    .private_segment_fixed_size: 0
    .sgpr_count:     18
    .sgpr_spill_count: 0
    .symbol:         _ZN9rocsolver6v33100L16reset_batch_infoI19rocblas_complex_numIdEiiPS3_EEvT2_lT0_T1_.kd
    .uniform_work_group_size: 1
    .uses_dynamic_stack: false
    .vgpr_count:     7
    .vgpr_spill_count: 0
    .wavefront_size: 32
    .workgroup_processor_mode: 1
  - .args:
      - .offset:         0
        .size:           4
        .value_kind:     by_value
      - .offset:         4
        .size:           4
        .value_kind:     by_value
      - .address_space:  global
        .offset:         8
        .size:           8
        .value_kind:     global_buffer
      - .offset:         16
        .size:           4
        .value_kind:     by_value
      - .offset:         20
        .size:           4
        .value_kind:     by_value
      - .offset:         24
        .size:           8
        .value_kind:     by_value
      - .offset:         32
        .size:           4
        .value_kind:     hidden_block_count_x
      - .offset:         36
        .size:           4
        .value_kind:     hidden_block_count_y
      - .offset:         40
        .size:           4
        .value_kind:     hidden_block_count_z
      - .offset:         44
        .size:           2
        .value_kind:     hidden_group_size_x
      - .offset:         46
        .size:           2
        .value_kind:     hidden_group_size_y
      - .offset:         48
        .size:           2
        .value_kind:     hidden_group_size_z
      - .offset:         50
        .size:           2
        .value_kind:     hidden_remainder_x
      - .offset:         52
        .size:           2
        .value_kind:     hidden_remainder_y
      - .offset:         54
        .size:           2
        .value_kind:     hidden_remainder_z
      - .offset:         72
        .size:           8
        .value_kind:     hidden_global_offset_x
      - .offset:         80
        .size:           8
        .value_kind:     hidden_global_offset_y
      - .offset:         88
        .size:           8
        .value_kind:     hidden_global_offset_z
      - .offset:         96
        .size:           2
        .value_kind:     hidden_grid_dims
    .group_segment_fixed_size: 0
    .kernarg_segment_align: 8
    .kernarg_segment_size: 288
    .language:       OpenCL C
    .language_version:
      - 2
      - 0
    .max_flat_workgroup_size: 1024
    .name:           _ZN9rocsolver6v33100L10init_identI19rocblas_complex_numIdEPS3_EEviiT0_iil
    .private_segment_fixed_size: 0
    .sgpr_count:     18
    .sgpr_spill_count: 0
    .symbol:         _ZN9rocsolver6v33100L10init_identI19rocblas_complex_numIdEPS3_EEviiT0_iil.kd
    .uniform_work_group_size: 1
    .uses_dynamic_stack: false
    .vgpr_count:     6
    .vgpr_spill_count: 0
    .wavefront_size: 32
    .workgroup_processor_mode: 1
  - .args:
      - .offset:         0
        .size:           4
        .value_kind:     by_value
      - .offset:         4
        .size:           4
        .value_kind:     by_value
      - .offset:         8
        .size:           4
        .value_kind:     by_value
      - .offset:         12
        .size:           4
        .value_kind:     by_value
      - .offset:         16
        .size:           4
        .value_kind:     by_value
      - .address_space:  global
        .offset:         24
        .size:           8
        .value_kind:     global_buffer
      - .offset:         32
        .size:           8
        .value_kind:     by_value
      - .address_space:  global
        .offset:         40
        .size:           8
        .value_kind:     global_buffer
      - .offset:         48
        .size:           8
        .value_kind:     by_value
      - .address_space:  global
        .offset:         56
        .size:           8
        .value_kind:     global_buffer
      - .offset:         64
        .size:           8
        .value_kind:     by_value
      - .offset:         72
        .size:           4
        .value_kind:     by_value
      - .offset:         80
        .size:           8
        .value_kind:     by_value
      - .offset:         88
        .size:           4
        .value_kind:     by_value
      - .offset:         96
        .size:           4
        .value_kind:     hidden_block_count_x
      - .offset:         100
        .size:           4
        .value_kind:     hidden_block_count_y
      - .offset:         104
        .size:           4
        .value_kind:     hidden_block_count_z
      - .offset:         108
        .size:           2
        .value_kind:     hidden_group_size_x
      - .offset:         110
        .size:           2
        .value_kind:     hidden_group_size_y
      - .offset:         112
        .size:           2
        .value_kind:     hidden_group_size_z
      - .offset:         114
        .size:           2
        .value_kind:     hidden_remainder_x
      - .offset:         116
        .size:           2
        .value_kind:     hidden_remainder_y
      - .offset:         118
        .size:           2
        .value_kind:     hidden_remainder_z
      - .offset:         136
        .size:           8
        .value_kind:     hidden_global_offset_x
      - .offset:         144
        .size:           8
        .value_kind:     hidden_global_offset_y
      - .offset:         152
        .size:           8
        .value_kind:     hidden_global_offset_z
      - .offset:         160
        .size:           2
        .value_kind:     hidden_grid_dims
    .group_segment_fixed_size: 0
    .kernarg_segment_align: 8
    .kernarg_segment_size: 352
    .language:       OpenCL C
    .language_version:
      - 2
      - 0
    .max_flat_workgroup_size: 64
    .name:           _ZN9rocsolver6v33100L11lasr_kernelI19rocblas_complex_numIdEdPS3_iEEv13rocblas_side_14rocblas_pivot_15rocblas_direct_T2_S8_PT0_lSA_lT1_lS8_lS8_
    .private_segment_fixed_size: 0
    .sgpr_count:     89
    .sgpr_spill_count: 0
    .symbol:         _ZN9rocsolver6v33100L11lasr_kernelI19rocblas_complex_numIdEdPS3_iEEv13rocblas_side_14rocblas_pivot_15rocblas_direct_T2_S8_PT0_lSA_lT1_lS8_lS8_.kd
    .uniform_work_group_size: 1
    .uses_dynamic_stack: false
    .vgpr_count:     55
    .vgpr_spill_count: 0
    .wavefront_size: 32
    .workgroup_processor_mode: 1
  - .args:
      - .offset:         0
        .size:           4
        .value_kind:     by_value
      - .address_space:  global
        .offset:         8
        .size:           8
        .value_kind:     global_buffer
      - .offset:         16
        .size:           4
        .value_kind:     by_value
      - .address_space:  global
        .offset:         24
        .size:           8
        .value_kind:     global_buffer
      - .offset:         32
        .size:           4
        .value_kind:     by_value
      - .offset:         40
        .size:           4
        .value_kind:     hidden_block_count_x
      - .offset:         44
        .size:           4
        .value_kind:     hidden_block_count_y
      - .offset:         48
        .size:           4
        .value_kind:     hidden_block_count_z
      - .offset:         52
        .size:           2
        .value_kind:     hidden_group_size_x
      - .offset:         54
        .size:           2
        .value_kind:     hidden_group_size_y
      - .offset:         56
        .size:           2
        .value_kind:     hidden_group_size_z
      - .offset:         58
        .size:           2
        .value_kind:     hidden_remainder_x
      - .offset:         60
        .size:           2
        .value_kind:     hidden_remainder_y
      - .offset:         62
        .size:           2
        .value_kind:     hidden_remainder_z
      - .offset:         80
        .size:           8
        .value_kind:     hidden_global_offset_x
      - .offset:         88
        .size:           8
        .value_kind:     hidden_global_offset_y
      - .offset:         96
        .size:           8
        .value_kind:     hidden_global_offset_z
      - .offset:         104
        .size:           2
        .value_kind:     hidden_grid_dims
    .group_segment_fixed_size: 32768
    .kernarg_segment_align: 8
    .kernarg_segment_size: 296
    .language:       OpenCL C
    .language_version:
      - 2
      - 0
    .max_flat_workgroup_size: 1024
    .name:           _ZN9rocsolver6v33100L11swap_kernelI19rocblas_complex_numIdEiEEvT0_PT_S4_S6_S4_
    .private_segment_fixed_size: 0
    .sgpr_count:     18
    .sgpr_spill_count: 0
    .symbol:         _ZN9rocsolver6v33100L11swap_kernelI19rocblas_complex_numIdEiEEvT0_PT_S4_S6_S4_.kd
    .uniform_work_group_size: 1
    .uses_dynamic_stack: false
    .vgpr_count:     16
    .vgpr_spill_count: 0
    .wavefront_size: 32
    .workgroup_processor_mode: 1
  - .args:
      - .offset:         0
        .size:           4
        .value_kind:     by_value
      - .address_space:  global
        .offset:         8
        .size:           8
        .value_kind:     global_buffer
      - .offset:         16
        .size:           8
        .value_kind:     by_value
      - .address_space:  global
        .offset:         24
        .size:           8
        .value_kind:     global_buffer
      - .offset:         32
        .size:           8
        .value_kind:     by_value
      - .address_space:  global
        .offset:         40
        .size:           8
        .value_kind:     global_buffer
      - .offset:         48
        .size:           4
        .value_kind:     by_value
      - .offset:         52
        .size:           4
        .value_kind:     by_value
      - .offset:         56
        .size:           8
        .value_kind:     by_value
      - .address_space:  global
        .offset:         64
        .size:           8
        .value_kind:     global_buffer
      - .address_space:  global
        .offset:         72
        .size:           8
        .value_kind:     global_buffer
      - .offset:         80
        .size:           4
        .value_kind:     by_value
      - .offset:         88
        .size:           8
        .value_kind:     by_value
      - .offset:         96
        .size:           8
        .value_kind:     by_value
      - .offset:         104
        .size:           8
        .value_kind:     by_value
      - .offset:         112
        .size:           4
        .value_kind:     hidden_block_count_x
      - .offset:         116
        .size:           4
        .value_kind:     hidden_block_count_y
      - .offset:         120
        .size:           4
        .value_kind:     hidden_block_count_z
      - .offset:         124
        .size:           2
        .value_kind:     hidden_group_size_x
      - .offset:         126
        .size:           2
        .value_kind:     hidden_group_size_y
      - .offset:         128
        .size:           2
        .value_kind:     hidden_group_size_z
      - .offset:         130
        .size:           2
        .value_kind:     hidden_remainder_x
      - .offset:         132
        .size:           2
        .value_kind:     hidden_remainder_y
      - .offset:         134
        .size:           2
        .value_kind:     hidden_remainder_z
      - .offset:         152
        .size:           8
        .value_kind:     hidden_global_offset_x
      - .offset:         160
        .size:           8
        .value_kind:     hidden_global_offset_y
      - .offset:         168
        .size:           8
        .value_kind:     hidden_global_offset_z
      - .offset:         176
        .size:           2
        .value_kind:     hidden_grid_dims
    .group_segment_fixed_size: 16432
    .kernarg_segment_align: 8
    .kernarg_segment_size: 368
    .language:       OpenCL C
    .language_version:
      - 2
      - 0
    .max_flat_workgroup_size: 1024
    .name:           _ZN9rocsolver6v33100L12steqr_kernelI19rocblas_complex_numIdEdPS3_EEviPT0_lS6_lT1_iilPiS6_iS5_S5_S5_
    .private_segment_fixed_size: 0
    .sgpr_count:     93
    .sgpr_spill_count: 0
    .symbol:         _ZN9rocsolver6v33100L12steqr_kernelI19rocblas_complex_numIdEdPS3_EEviPT0_lS6_lT1_iilPiS6_iS5_S5_S5_.kd
    .uniform_work_group_size: 1
    .uses_dynamic_stack: false
    .vgpr_count:     70
    .vgpr_spill_count: 0
    .wavefront_size: 32
    .workgroup_processor_mode: 1
amdhsa.target:   amdgcn-amd-amdhsa--gfx1100
amdhsa.version:
  - 1
  - 2
...

	.end_amdgpu_metadata
